;; amdgpu-corpus repo=ROCm/rocFFT kind=compiled arch=gfx950 opt=O3
	.text
	.amdgcn_target "amdgcn-amd-amdhsa--gfx950"
	.amdhsa_code_object_version 6
	.protected	bluestein_single_back_len561_dim1_sp_op_CI_CI ; -- Begin function bluestein_single_back_len561_dim1_sp_op_CI_CI
	.globl	bluestein_single_back_len561_dim1_sp_op_CI_CI
	.p2align	8
	.type	bluestein_single_back_len561_dim1_sp_op_CI_CI,@function
bluestein_single_back_len561_dim1_sp_op_CI_CI: ; @bluestein_single_back_len561_dim1_sp_op_CI_CI
; %bb.0:
	s_load_dwordx4 s[4:7], s[0:1], 0x28
	v_mul_u32_u24_e32 v1, 0x506, v0
	v_lshrrev_b32_e32 v2, 16, v1
	v_mad_u64_u32 v[68:69], s[2:3], s2, 5, v[2:3]
	v_mov_b32_e32 v69, 0
	s_waitcnt lgkmcnt(0)
	v_cmp_gt_u64_e32 vcc, s[4:5], v[68:69]
	s_and_saveexec_b64 s[2:3], vcc
	s_cbranch_execz .LBB0_23
; %bb.1:
	v_mul_lo_u16_e32 v1, 51, v2
	s_mov_b32 s2, 0xcccccccd
	v_sub_u16_e32 v74, v0, v1
	v_mul_hi_u32 v0, v68, s2
	v_lshrrev_b32_e32 v0, 2, v0
	s_load_dwordx2 s[12:13], s[0:1], 0x0
	s_load_dwordx2 s[14:15], s[0:1], 0x38
	v_lshl_add_u32 v0, v0, 2, v0
	v_sub_u32_e32 v0, v68, v0
	v_mul_u32_u24_e32 v67, 0x231, v0
	v_lshlrev_b32_e32 v0, 3, v67
	v_cmp_gt_u16_e64 s[4:5], 33, v74
	v_lshlrev_b32_e32 v66, 3, v74
	v_accvgpr_write_b32 a1, v0
	s_and_saveexec_b64 s[2:3], s[4:5]
	s_cbranch_execz .LBB0_3
; %bb.2:
	s_load_dwordx2 s[8:9], s[0:1], 0x18
	v_mov_b32_e32 v0, s6
	v_mov_b32_e32 v1, s7
	;; [unrolled: 1-line block ×4, first 2 shown]
	s_waitcnt lgkmcnt(0)
	s_load_dwordx4 s[8:11], s[8:9], 0x0
	v_mov_b32_e32 v67, 0
	v_lshl_add_u64 v[28:29], s[12:13], 0, v[66:67]
	v_add_co_u32_e32 v28, vcc, 0x1000, v28
	s_waitcnt lgkmcnt(0)
	v_mad_u64_u32 v[2:3], s[6:7], s10, v68, 0
	v_mad_u64_u32 v[4:5], s[6:7], s8, v74, 0
	v_mov_b32_e32 v6, v3
	v_mov_b32_e32 v8, v5
	v_mad_u64_u32 v[6:7], s[6:7], s11, v68, v[6:7]
	v_mov_b32_e32 v3, v6
	v_mad_u64_u32 v[6:7], s[6:7], s9, v74, v[8:9]
	v_mov_b32_e32 v5, v6
	v_lshl_add_u64 v[0:1], v[2:3], 3, v[0:1]
	v_lshl_add_u64 v[2:3], v[4:5], 3, v[0:1]
	v_mad_u64_u32 v[4:5], s[6:7], s8, v69, v[2:3]
	s_mul_i32 s6, s9, 0x108
	s_nop 0
	v_add_u32_e32 v5, s6, v5
	v_mad_u64_u32 v[14:15], s[10:11], s8, v69, v[4:5]
	v_add_u32_e32 v15, s6, v15
	global_load_dwordx2 v[0:1], v[2:3], off
	v_addc_co_u32_e32 v29, vcc, 0, v29, vcc
	global_load_dwordx2 v[2:3], v[4:5], off
	global_load_dwordx2 v[8:9], v66, s[12:13]
	s_nop 0
	global_load_dwordx2 v[4:5], v66, s[12:13] offset:264
	global_load_dwordx2 v[6:7], v66, s[12:13] offset:528
	;; [unrolled: 1-line block ×10, first 2 shown]
	global_load_dwordx2 v[30:31], v[14:15], off
	v_mad_u64_u32 v[14:15], s[10:11], s8, v69, v[14:15]
	v_add_u32_e32 v15, s6, v15
	global_load_dwordx2 v[32:33], v[14:15], off
	v_mad_u64_u32 v[14:15], s[10:11], s8, v69, v[14:15]
	v_add_u32_e32 v15, s6, v15
	;; [unrolled: 3-line block ×6, first 2 shown]
	global_load_dwordx2 v[42:43], v[14:15], off
	global_load_dwordx2 v[44:45], v[28:29], off offset:128
	v_mad_u64_u32 v[14:15], s[10:11], s8, v69, v[14:15]
	v_add_u32_e32 v15, s6, v15
	global_load_dwordx2 v[28:29], v[14:15], off
	v_mad_u64_u32 v[14:15], s[10:11], s8, v69, v[14:15]
	v_add_u32_e32 v15, s6, v15
	global_load_dwordx2 v[46:47], v[14:15], off
	;; [unrolled: 3-line block ×3, first 2 shown]
	v_mad_u64_u32 v[14:15], s[10:11], s8, v69, v[14:15]
	v_add_u32_e32 v15, s6, v15
	global_load_dwordx2 v[50:51], v66, s[12:13] offset:2904
	global_load_dwordx2 v[52:53], v[14:15], off
	global_load_dwordx2 v[54:55], v66, s[12:13] offset:3168
	v_mad_u64_u32 v[14:15], s[10:11], s8, v69, v[14:15]
	v_add_u32_e32 v15, s6, v15
	global_load_dwordx2 v[56:57], v[14:15], off
	global_load_dwordx2 v[58:59], v66, s[12:13] offset:3432
	v_mad_u64_u32 v[14:15], s[10:11], s8, v69, v[14:15]
	v_add_u32_e32 v15, s6, v15
	;; [unrolled: 4-line block ×4, first 2 shown]
	global_load_dwordx2 v[14:15], v[14:15], off
	v_accvgpr_read_b32 v69, a1
	v_lshl_add_u32 v67, v74, 3, v69
	s_waitcnt vmcnt(31)
	v_mul_f32_e32 v72, v1, v9
	v_mul_f32_e32 v9, v0, v9
	v_fmac_f32_e32 v72, v0, v8
	v_fma_f32 v73, v1, v8, -v9
	s_waitcnt vmcnt(30)
	v_mul_f32_e32 v0, v3, v5
	v_mul_f32_e32 v1, v2, v5
	v_fmac_f32_e32 v0, v2, v4
	v_fma_f32 v1, v3, v4, -v1
	;; [unrolled: 5-line block ×3, first 2 shown]
	v_add_u32_e32 v4, v69, v66
	ds_write_b64 v67, v[72:73]
	ds_write2_b64 v4, v[0:1], v[2:3] offset0:33 offset1:66
	s_waitcnt vmcnt(19)
	v_mul_f32_e32 v0, v33, v11
	v_mul_f32_e32 v1, v32, v11
	s_waitcnt vmcnt(18)
	v_mul_f32_e32 v2, v35, v13
	v_mul_f32_e32 v3, v34, v13
	v_fmac_f32_e32 v0, v32, v10
	v_fma_f32 v1, v33, v10, -v1
	v_fmac_f32_e32 v2, v34, v12
	v_fma_f32 v3, v35, v12, -v3
	ds_write2_b64 v4, v[0:1], v[2:3] offset0:99 offset1:132
	s_waitcnt vmcnt(17)
	v_mul_f32_e32 v0, v37, v17
	v_mul_f32_e32 v1, v36, v17
	s_waitcnt vmcnt(16)
	v_mul_f32_e32 v2, v39, v19
	v_mul_f32_e32 v3, v38, v19
	v_fmac_f32_e32 v0, v36, v16
	v_fma_f32 v1, v37, v16, -v1
	v_fmac_f32_e32 v2, v38, v18
	v_fma_f32 v3, v39, v18, -v3
	;; [unrolled: 11-line block ×3, first 2 shown]
	v_add_u32_e32 v5, 0x400, v4
	ds_write2_b64 v5, v[0:1], v[2:3] offset0:103 offset1:136
	s_waitcnt vmcnt(12)
	v_mul_f32_e32 v0, v29, v25
	v_mul_f32_e32 v1, v28, v25
	s_waitcnt vmcnt(11)
	v_mul_f32_e32 v2, v47, v27
	v_mul_f32_e32 v3, v46, v27
	v_fmac_f32_e32 v0, v28, v24
	v_fma_f32 v1, v29, v24, -v1
	v_fmac_f32_e32 v2, v46, v26
	v_fma_f32 v3, v47, v26, -v3
	v_add_u32_e32 v5, 0x800, v4
	ds_write2_b64 v5, v[0:1], v[2:3] offset0:41 offset1:74
	s_waitcnt vmcnt(9)
	v_mul_f32_e32 v0, v49, v51
	v_mul_f32_e32 v1, v48, v51
	s_waitcnt vmcnt(7)
	v_mul_f32_e32 v2, v53, v55
	v_mul_f32_e32 v3, v52, v55
	v_fmac_f32_e32 v0, v48, v50
	v_fma_f32 v1, v49, v50, -v1
	v_fmac_f32_e32 v2, v52, v54
	v_fma_f32 v3, v53, v54, -v3
	ds_write2_b64 v5, v[0:1], v[2:3] offset0:107 offset1:140
	s_waitcnt vmcnt(5)
	v_mul_f32_e32 v0, v57, v59
	v_mul_f32_e32 v1, v56, v59
	s_waitcnt vmcnt(3)
	v_mul_f32_e32 v2, v61, v63
	v_mul_f32_e32 v3, v60, v63
	v_fmac_f32_e32 v0, v56, v58
	v_fma_f32 v1, v57, v58, -v1
	v_fmac_f32_e32 v2, v60, v62
	v_fma_f32 v3, v61, v62, -v3
	ds_write2_b64 v5, v[0:1], v[2:3] offset0:173 offset1:206
	s_waitcnt vmcnt(1)
	v_mul_f32_e32 v0, v65, v71
	v_mul_f32_e32 v1, v64, v71
	s_waitcnt vmcnt(0)
	v_mul_f32_e32 v2, v15, v45
	v_mul_f32_e32 v3, v14, v45
	v_mov_b32_e32 v67, v75
	v_fmac_f32_e32 v0, v64, v70
	v_fma_f32 v1, v65, v70, -v1
	v_fmac_f32_e32 v2, v14, v44
	v_fma_f32 v3, v15, v44, -v3
	v_add_u32_e32 v4, 0xc00, v4
	ds_write2_b64 v4, v[0:1], v[2:3] offset0:111 offset1:144
.LBB0_3:
	s_or_b64 exec, exec, s[2:3]
	v_accvgpr_write_b32 a0, v74
	v_mov_b32_e32 v0, 0
	v_mov_b32_e32 v1, 0
	s_waitcnt lgkmcnt(0)
	s_barrier
	s_waitcnt lgkmcnt(0)
                                        ; implicit-def: $vgpr18
                                        ; implicit-def: $vgpr4
                                        ; implicit-def: $vgpr22
                                        ; implicit-def: $vgpr8
                                        ; implicit-def: $vgpr26
                                        ; implicit-def: $vgpr14
                                        ; implicit-def: $vgpr28
                                        ; implicit-def: $vgpr32
	s_and_saveexec_b64 s[2:3], s[4:5]
	s_cbranch_execz .LBB0_5
; %bb.4:
	v_lshl_add_u32 v32, v67, 3, v66
	v_add_u32_e32 v12, 0x800, v32
	ds_read2_b64 v[0:3], v32 offset1:33
	ds_read2_b64 v[28:31], v32 offset0:66 offset1:99
	ds_read2_b64 v[24:27], v32 offset0:132 offset1:165
	;; [unrolled: 1-line block ×7, first 2 shown]
	ds_read_b64 v[32:33], v32 offset:4224
.LBB0_5:
	s_or_b64 exec, exec, s[2:3]
	s_waitcnt lgkmcnt(0)
	v_pk_add_f32 v[128:129], v[2:3], v[32:33] neg_lo:[0,1] neg_hi:[0,1]
	s_mov_b32 s20, 0xbeb8f4ab
	v_pk_add_f32 v[38:39], v[32:33], v[2:3]
	s_mov_b32 s8, 0x3f6eb680
	v_pk_mul_f32 v[34:35], v[128:129], s[20:21] op_sel_hi:[1,0]
	v_pk_add_f32 v[130:131], v[28:29], v[14:15] neg_lo:[0,1] neg_hi:[0,1]
	s_mov_b32 s28, 0xbf2c7751
	v_pk_fma_f32 v[44:45], v[38:39], s[8:9], v[34:35] op_sel:[0,0,1] op_sel_hi:[1,0,0]
	v_pk_fma_f32 v[42:43], v[38:39], s[8:9], v[34:35] op_sel:[0,0,1] op_sel_hi:[1,0,0] neg_lo:[0,0,1] neg_hi:[0,0,1]
	v_pk_add_f32 v[60:61], v[14:15], v[28:29]
	s_mov_b32 s6, 0x3f3d2fb0
	v_pk_mul_f32 v[34:35], v[128:129], s[28:29] op_sel_hi:[1,0]
	s_mov_b32 s22, 0xbf7ee86f
	v_pk_mul_f32 v[48:49], v[130:131], s[28:29] op_sel_hi:[1,0]
	v_pk_fma_f32 v[46:47], v[38:39], s[6:7], v[34:35] op_sel:[0,0,1] op_sel_hi:[1,0,0]
	v_pk_fma_f32 v[34:35], v[38:39], s[6:7], v[34:35] op_sel:[0,0,1] op_sel_hi:[1,0,0] neg_lo:[0,0,1] neg_hi:[0,0,1]
	s_mov_b32 s2, 0x3dbcf732
	v_pk_mul_f32 v[36:37], v[130:131], s[22:23] op_sel_hi:[1,0]
	v_mov_b32_e32 v69, v45
	v_mov_b32_e32 v45, v43
	v_pk_fma_f32 v[52:53], v[60:61], s[6:7], v[48:49] op_sel:[0,0,1] op_sel_hi:[1,0,0]
	v_pk_fma_f32 v[86:87], v[60:61], s[6:7], v[48:49] op_sel:[0,0,1] op_sel_hi:[1,0,0] neg_lo:[0,0,1] neg_hi:[0,0,1]
	v_pk_fma_f32 v[50:51], v[60:61], s[2:3], v[36:37] op_sel:[0,0,1] op_sel_hi:[1,0,0]
	v_pk_fma_f32 v[40:41], v[60:61], s[2:3], v[36:37] op_sel:[0,0,1] op_sel_hi:[1,0,0] neg_lo:[0,0,1] neg_hi:[0,0,1]
	s_mov_b32 s18, 0xbf4c4adb
	v_pk_add_f32 v[44:45], v[44:45], v[0:1]
	v_mov_b32_e32 v43, v47
	v_mov_b32_e32 v47, v35
	;; [unrolled: 1-line block ×4, first 2 shown]
	s_mov_b32 s42, 0xbf65296c
	s_mov_b32 s16, 0xbf1a4643
	v_pk_mul_f32 v[36:37], v[130:131], s[18:19] op_sel_hi:[1,0]
	v_pk_add_f32 v[46:47], v[46:47], v[0:1]
	v_pk_add_f32 v[48:49], v[48:49], v[44:45]
	v_mov_b32_e32 v44, v50
	v_mov_b32_e32 v45, v41
	s_mov_b32 s10, 0x3ee437d1
	v_pk_add_f32 v[46:47], v[44:45], v[46:47]
	v_pk_fma_f32 v[44:45], v[60:61], s[16:17], v[36:37] op_sel:[0,0,1] op_sel_hi:[1,0,0]
	v_pk_fma_f32 v[56:57], v[60:61], s[16:17], v[36:37] op_sel:[0,0,1] op_sel_hi:[1,0,0] neg_lo:[0,0,1] neg_hi:[0,0,1]
	v_pk_mul_f32 v[36:37], v[128:129], s[42:43] op_sel_hi:[1,0]
	v_mov_b32_e32 v87, v51
	v_pk_fma_f32 v[50:51], v[38:39], s[10:11], v[36:37] op_sel:[0,0,1] op_sel_hi:[1,0,0]
	v_pk_fma_f32 v[58:59], v[38:39], s[10:11], v[36:37] op_sel:[0,0,1] op_sel_hi:[1,0,0] neg_lo:[0,0,1] neg_hi:[0,0,1]
	v_mov_b32_e32 v36, v50
	v_mov_b32_e32 v37, v59
	v_pk_add_f32 v[36:37], v[36:37], v[0:1]
	v_mov_b32_e32 v35, v45
	v_mov_b32_e32 v45, v57
	v_pk_add_f32 v[36:37], v[44:45], v[36:37]
	v_pk_mul_f32 v[44:45], v[128:129], s[22:23] op_sel_hi:[1,0]
	v_mov_b32_e32 v41, v51
	s_mov_b32 s26, 0xbe3c28d5
	v_pk_fma_f32 v[50:51], v[38:39], s[2:3], v[44:45] op_sel:[0,0,1] op_sel_hi:[1,0,0]
	v_accvgpr_write_b32 a11, v53
	s_mov_b32 s24, 0xbf7ba420
	v_pk_fma_f32 v[52:53], v[38:39], s[2:3], v[44:45] op_sel:[0,0,1] op_sel_hi:[1,0,0] neg_lo:[0,0,1] neg_hi:[0,0,1]
	v_mov_b32_e32 v57, v51
	v_mov_b32_e32 v44, v50
	v_pk_mul_f32 v[50:51], v[130:131], s[26:27] op_sel_hi:[1,0]
	v_mov_b32_e32 v45, v53
	v_pk_fma_f32 v[62:63], v[60:61], s[24:25], v[50:51] op_sel:[0,0,1] op_sel_hi:[1,0,0]
	v_pk_fma_f32 v[54:55], v[60:61], s[24:25], v[50:51] op_sel:[0,0,1] op_sel_hi:[1,0,0] neg_lo:[0,0,1] neg_hi:[0,0,1]
	v_mov_b32_e32 v50, v62
	v_mov_b32_e32 v51, v55
	v_pk_add_f32 v[44:45], v[44:45], v[0:1]
	v_mov_b32_e32 v59, v63
	v_pk_add_f32 v[50:51], v[50:51], v[44:45]
	v_pk_add_f32 v[44:45], v[30:31], v[12:13] neg_lo:[0,1] neg_hi:[0,1]
	v_pk_add_f32 v[250:251], v[12:13], v[30:31]
	v_pk_mul_f32 v[62:63], v[44:45], s[42:43] op_sel_hi:[1,0]
	s_mov_b32 s30, 0x3e3c28d5
	v_pk_fma_f32 v[64:65], v[250:251], s[10:11], v[62:63] op_sel:[0,0,1] op_sel_hi:[1,0,0]
	v_pk_fma_f32 v[102:103], v[250:251], s[10:11], v[62:63] op_sel:[0,0,1] op_sel_hi:[1,0,0] neg_lo:[0,0,1] neg_hi:[0,0,1]
	v_mov_b32_e32 v62, v64
	v_mov_b32_e32 v63, v103
	v_pk_add_f32 v[48:49], v[62:63], v[48:49]
	v_pk_mul_f32 v[62:63], v[44:45], s[18:19] op_sel_hi:[1,0]
	v_accvgpr_write_b32 a15, v65
	v_pk_fma_f32 v[64:65], v[250:251], s[16:17], v[62:63] op_sel:[0,0,1] op_sel_hi:[1,0,0]
	v_pk_fma_f32 v[92:93], v[250:251], s[16:17], v[62:63] op_sel:[0,0,1] op_sel_hi:[1,0,0] neg_lo:[0,0,1] neg_hi:[0,0,1]
	v_mov_b32_e32 v62, v64
	v_mov_b32_e32 v63, v93
	v_pk_add_f32 v[46:47], v[62:63], v[46:47]
	v_pk_mul_f32 v[62:63], v[44:45], s[30:31] op_sel_hi:[1,0]
	v_accvgpr_write_b32 a13, v65
	v_pk_fma_f32 v[64:65], v[250:251], s[24:25], v[62:63] op_sel:[0,0,1] op_sel_hi:[1,0,0]
	v_pk_fma_f32 v[82:83], v[250:251], s[24:25], v[62:63] op_sel:[0,0,1] op_sel_hi:[1,0,0] neg_lo:[0,0,1] neg_hi:[0,0,1]
	v_mov_b32_e32 v62, v64
	v_mov_b32_e32 v63, v83
	s_mov_b32 s48, 0x3f763a35
	v_pk_add_f32 v[36:37], v[62:63], v[36:37]
	s_mov_b32 s30, 0xbe8c1d8e
	v_pk_mul_f32 v[62:63], v[44:45], s[48:49] op_sel_hi:[1,0]
	v_mov_b32_e32 v93, v65
	v_pk_fma_f32 v[64:65], v[250:251], s[30:31], v[62:63] op_sel:[0,0,1] op_sel_hi:[1,0,0]
	v_pk_fma_f32 v[78:79], v[250:251], s[30:31], v[62:63] op_sel:[0,0,1] op_sel_hi:[1,0,0] neg_lo:[0,0,1] neg_hi:[0,0,1]
	v_mov_b32_e32 v62, v64
	v_mov_b32_e32 v63, v79
	s_mov_b32 s34, 0xbf763a35
	v_pk_add_f32 v[50:51], v[62:63], v[50:51]
	s_mov_b32 s44, 0x3f06c442
	v_pk_mul_f32 v[62:63], v[128:129], s[34:35] op_sel_hi:[1,0]
	v_mov_b32_e32 v83, v65
	s_mov_b32 s36, 0xbf59a7d5
	v_pk_fma_f32 v[70:71], v[38:39], s[30:31], v[62:63] op_sel:[0,0,1] op_sel_hi:[1,0,0]
	v_pk_fma_f32 v[62:63], v[38:39], s[30:31], v[62:63] op_sel:[0,0,1] op_sel_hi:[1,0,0] neg_lo:[0,0,1] neg_hi:[0,0,1]
	v_pk_mul_f32 v[64:65], v[130:131], s[44:45] op_sel_hi:[1,0]
	v_mov_b32_e32 v53, v71
	v_mov_b32_e32 v71, v63
	v_pk_fma_f32 v[72:73], v[60:61], s[36:37], v[64:65] op_sel:[0,0,1] op_sel_hi:[1,0,0]
	v_pk_fma_f32 v[64:65], v[60:61], s[36:37], v[64:65] op_sel:[0,0,1] op_sel_hi:[1,0,0] neg_lo:[0,0,1] neg_hi:[0,0,1]
	v_mov_b32_e32 v55, v73
	v_mov_b32_e32 v73, v65
	v_pk_add_f32 v[70:71], v[70:71], v[0:1]
	s_mov_b32 s38, 0x3f2c7751
	v_pk_add_f32 v[70:71], v[72:73], v[70:71]
	v_pk_mul_f32 v[72:73], v[44:45], s[38:39] op_sel_hi:[1,0]
	v_pk_add_f32 v[110:111], v[24:25], v[10:11] neg_lo:[0,1] neg_hi:[0,1]
	v_pk_fma_f32 v[74:75], v[250:251], s[6:7], v[72:73] op_sel:[0,0,1] op_sel_hi:[1,0,0]
	v_pk_fma_f32 v[80:81], v[250:251], s[6:7], v[72:73] op_sel:[0,0,1] op_sel_hi:[1,0,0] neg_lo:[0,0,1] neg_hi:[0,0,1]
	v_mov_b32_e32 v72, v74
	v_mov_b32_e32 v73, v81
	v_pk_add_f32 v[70:71], v[72:73], v[70:71]
	v_pk_add_f32 v[108:109], v[10:11], v[24:25]
	v_pk_mul_f32 v[72:73], v[110:111], s[22:23] op_sel:[1,0] op_sel_hi:[0,0]
	v_mov_b32_e32 v79, v75
	v_pk_fma_f32 v[74:75], v[108:109], s[2:3], v[72:73] op_sel_hi:[1,0,1]
	v_pk_fma_f32 v[138:139], v[108:109], s[2:3], v[72:73] op_sel_hi:[1,0,1] neg_lo:[0,0,1] neg_hi:[0,0,1]
	v_mov_b32_e32 v72, v74
	v_mov_b32_e32 v73, v139
	v_pk_add_f32 v[48:49], v[72:73], v[48:49]
	v_pk_mul_f32 v[72:73], v[110:111], s[26:27] op_sel:[1,0] op_sel_hi:[0,0]
	v_accvgpr_write_b32 a25, v75
	v_pk_fma_f32 v[74:75], v[108:109], s[24:25], v[72:73] op_sel_hi:[1,0,1]
	v_pk_fma_f32 v[122:123], v[108:109], s[24:25], v[72:73] op_sel_hi:[1,0,1] neg_lo:[0,0,1] neg_hi:[0,0,1]
	v_mov_b32_e32 v72, v74
	v_mov_b32_e32 v73, v123
	v_pk_add_f32 v[46:47], v[72:73], v[46:47]
	v_pk_mul_f32 v[72:73], v[110:111], s[48:49] op_sel:[1,0] op_sel_hi:[0,0]
	v_accvgpr_write_b32 a21, v75
	v_pk_fma_f32 v[74:75], v[108:109], s[30:31], v[72:73] op_sel_hi:[1,0,1]
	v_pk_fma_f32 v[112:113], v[108:109], s[30:31], v[72:73] op_sel_hi:[1,0,1] neg_lo:[0,0,1] neg_hi:[0,0,1]
	v_mov_b32_e32 v72, v74
	v_mov_b32_e32 v73, v113
	s_mov_b32 s40, 0x3eb8f4ab
	v_pk_add_f32 v[36:37], v[72:73], v[36:37]
	v_pk_mul_f32 v[72:73], v[110:111], s[40:41] op_sel:[1,0] op_sel_hi:[0,0]
	v_pk_fma_f32 v[174:175], v[108:109], s[8:9], v[72:73] op_sel_hi:[1,0,1]
	v_pk_fma_f32 v[104:105], v[108:109], s[8:9], v[72:73] op_sel_hi:[1,0,1] neg_lo:[0,0,1] neg_hi:[0,0,1]
	v_mov_b32_e32 v72, v174
	v_mov_b32_e32 v73, v105
	v_pk_add_f32 v[50:51], v[72:73], v[50:51]
	v_pk_mul_f32 v[72:73], v[110:111], s[42:43] op_sel:[1,0] op_sel_hi:[0,0]
	v_pk_fma_f32 v[180:181], v[108:109], s[10:11], v[72:73] op_sel_hi:[1,0,1]
	v_pk_fma_f32 v[94:95], v[108:109], s[10:11], v[72:73] op_sel_hi:[1,0,1] neg_lo:[0,0,1] neg_hi:[0,0,1]
	v_mov_b32_e32 v72, v180
	v_mov_b32_e32 v73, v95
	v_pk_add_f32 v[120:121], v[26:27], v[8:9] neg_lo:[0,1] neg_hi:[0,1]
	v_pk_add_f32 v[70:71], v[72:73], v[70:71]
	v_pk_add_f32 v[116:117], v[8:9], v[26:27]
	v_pk_mul_f32 v[72:73], v[120:121], s[34:35] op_sel:[1,0] op_sel_hi:[0,0]
	v_accvgpr_write_b32 a17, v75
	v_pk_fma_f32 v[74:75], v[116:117], s[30:31], v[72:73] op_sel_hi:[1,0,1]
	v_pk_fma_f32 v[164:165], v[116:117], s[30:31], v[72:73] op_sel_hi:[1,0,1] neg_lo:[0,0,1] neg_hi:[0,0,1]
	v_mov_b32_e32 v72, v74
	v_mov_b32_e32 v73, v165
	v_pk_add_f32 v[48:49], v[72:73], v[48:49]
	v_pk_mul_f32 v[72:73], v[120:121], s[44:45] op_sel:[1,0] op_sel_hi:[0,0]
	v_mov_b32_e32 v123, v75
	v_pk_fma_f32 v[74:75], v[116:117], s[36:37], v[72:73] op_sel_hi:[1,0,1]
	v_pk_fma_f32 v[152:153], v[116:117], s[36:37], v[72:73] op_sel_hi:[1,0,1] neg_lo:[0,0,1] neg_hi:[0,0,1]
	v_mov_b32_e32 v72, v74
	v_mov_b32_e32 v73, v153
	v_pk_add_f32 v[46:47], v[72:73], v[46:47]
	v_pk_mul_f32 v[72:73], v[120:121], s[38:39] op_sel:[1,0] op_sel_hi:[0,0]
	v_mov_b32_e32 v113, v75
	v_pk_fma_f32 v[74:75], v[116:117], s[6:7], v[72:73] op_sel_hi:[1,0,1]
	v_pk_fma_f32 v[134:135], v[116:117], s[6:7], v[72:73] op_sel_hi:[1,0,1] neg_lo:[0,0,1] neg_hi:[0,0,1]
	v_mov_b32_e32 v72, v74
	v_mov_b32_e32 v73, v135
	v_pk_add_f32 v[36:37], v[72:73], v[36:37]
	v_pk_mul_f32 v[72:73], v[120:121], s[42:43] op_sel:[1,0] op_sel_hi:[0,0]
	v_accvgpr_write_b32 a23, v75
	v_pk_fma_f32 v[74:75], v[116:117], s[10:11], v[72:73] op_sel_hi:[1,0,1]
	v_pk_fma_f32 v[118:119], v[116:117], s[10:11], v[72:73] op_sel_hi:[1,0,1] neg_lo:[0,0,1] neg_hi:[0,0,1]
	v_mov_b32_e32 v72, v74
	v_mov_b32_e32 v73, v119
	v_pk_add_f32 v[50:51], v[72:73], v[50:51]
	v_pk_mul_f32 v[72:73], v[120:121], s[26:27] op_sel:[1,0] op_sel_hi:[0,0]
	v_pk_fma_f32 v[210:211], v[116:117], s[24:25], v[72:73] op_sel_hi:[1,0,1]
	v_pk_fma_f32 v[114:115], v[116:117], s[24:25], v[72:73] op_sel_hi:[1,0,1] neg_lo:[0,0,1] neg_hi:[0,0,1]
	v_mov_b32_e32 v72, v210
	v_mov_b32_e32 v73, v115
	v_pk_add_f32 v[132:133], v[20:21], v[6:7] neg_lo:[0,1] neg_hi:[0,1]
	v_pk_add_f32 v[70:71], v[72:73], v[70:71]
	v_pk_add_f32 v[124:125], v[6:7], v[20:21]
	v_pk_mul_f32 v[72:73], v[132:133], s[18:19] op_sel:[1,0] op_sel_hi:[0,0]
	v_pk_fma_f32 v[182:183], v[124:125], s[16:17], v[72:73] op_sel_hi:[1,0,1]
	v_pk_fma_f32 v[192:193], v[124:125], s[16:17], v[72:73] op_sel_hi:[1,0,1] neg_lo:[0,0,1] neg_hi:[0,0,1]
	v_mov_b32_e32 v72, v182
	v_mov_b32_e32 v73, v193
	v_pk_add_f32 v[48:49], v[72:73], v[48:49]
	v_pk_mul_f32 v[72:73], v[132:133], s[48:49] op_sel:[1,0] op_sel_hi:[0,0]
	v_pk_fma_f32 v[170:171], v[124:125], s[30:31], v[72:73] op_sel_hi:[1,0,1]
	v_pk_fma_f32 v[172:173], v[124:125], s[30:31], v[72:73] op_sel_hi:[1,0,1] neg_lo:[0,0,1] neg_hi:[0,0,1]
	v_mov_b32_e32 v72, v170
	v_mov_b32_e32 v73, v173
	v_pk_add_f32 v[46:47], v[72:73], v[46:47]
	v_pk_mul_f32 v[72:73], v[132:133], s[20:21] op_sel:[1,0] op_sel_hi:[0,0]
	v_accvgpr_write_b32 a19, v75
	v_pk_fma_f32 v[74:75], v[124:125], s[8:9], v[72:73] op_sel_hi:[1,0,1]
	v_pk_fma_f32 v[160:161], v[124:125], s[8:9], v[72:73] op_sel_hi:[1,0,1] neg_lo:[0,0,1] neg_hi:[0,0,1]
	v_mov_b32_e32 v72, v74
	v_mov_b32_e32 v73, v161
	s_mov_b32 s44, 0xbf06c442
	v_pk_add_f32 v[36:37], v[72:73], v[36:37]
	v_pk_mul_f32 v[72:73], v[132:133], s[44:45] op_sel:[1,0] op_sel_hi:[0,0]
	v_mov_b32_e32 v119, v75
	v_pk_fma_f32 v[74:75], v[124:125], s[36:37], v[72:73] op_sel_hi:[1,0,1]
	v_pk_fma_f32 v[150:151], v[124:125], s[36:37], v[72:73] op_sel_hi:[1,0,1] neg_lo:[0,0,1] neg_hi:[0,0,1]
	v_mov_b32_e32 v72, v74
	v_mov_b32_e32 v73, v151
	s_mov_b32 s42, 0x3f7ee86f
	v_pk_add_f32 v[50:51], v[72:73], v[50:51]
	v_pk_mul_f32 v[72:73], v[132:133], s[42:43] op_sel:[1,0] op_sel_hi:[0,0]
	v_accvgpr_write_b32 a29, v75
	v_pk_fma_f32 v[74:75], v[124:125], s[2:3], v[72:73] op_sel_hi:[1,0,1]
	v_pk_fma_f32 v[142:143], v[124:125], s[2:3], v[72:73] op_sel_hi:[1,0,1] neg_lo:[0,0,1] neg_hi:[0,0,1]
	v_mov_b32_e32 v72, v74
	v_mov_b32_e32 v73, v143
	v_pk_add_f32 v[156:157], v[22:23], v[4:5] neg_lo:[0,1] neg_hi:[0,1]
	v_pk_add_f32 v[70:71], v[72:73], v[70:71]
	v_pk_add_f32 v[158:159], v[4:5], v[22:23]
	v_pk_mul_f32 v[72:73], v[156:157], s[44:45] op_sel:[1,0] op_sel_hi:[0,0]
	v_pk_fma_f32 v[220:221], v[158:159], s[36:37], v[72:73] op_sel_hi:[1,0,1]
	v_pk_fma_f32 v[222:223], v[158:159], s[36:37], v[72:73] op_sel_hi:[1,0,1] neg_lo:[0,0,1] neg_hi:[0,0,1]
	v_mov_b32_e32 v72, v220
	v_mov_b32_e32 v73, v223
	s_mov_b32 s46, 0x3f65296c
	v_pk_add_f32 v[126:127], v[72:73], v[48:49]
	v_pk_mul_f32 v[48:49], v[156:157], s[46:47] op_sel:[1,0] op_sel_hi:[0,0]
	v_pk_fma_f32 v[202:203], v[158:159], s[10:11], v[48:49] op_sel_hi:[1,0,1]
	v_pk_fma_f32 v[208:209], v[158:159], s[10:11], v[48:49] op_sel_hi:[1,0,1] neg_lo:[0,0,1] neg_hi:[0,0,1]
	v_mov_b32_e32 v48, v202
	v_mov_b32_e32 v49, v209
	v_pk_add_f32 v[46:47], v[48:49], v[46:47]
	v_pk_mul_f32 v[48:49], v[156:157], s[22:23] op_sel:[1,0] op_sel_hi:[0,0]
	v_pk_fma_f32 v[184:185], v[158:159], s[2:3], v[48:49] op_sel_hi:[1,0,1]
	v_pk_fma_f32 v[190:191], v[158:159], s[2:3], v[48:49] op_sel_hi:[1,0,1] neg_lo:[0,0,1] neg_hi:[0,0,1]
	v_mov_b32_e32 v48, v184
	v_mov_b32_e32 v49, v191
	s_mov_b32 s50, 0x3f4c4adb
	v_pk_add_f32 v[36:37], v[48:49], v[36:37]
	v_pk_mul_f32 v[48:49], v[156:157], s[50:51] op_sel:[1,0] op_sel_hi:[0,0]
	v_pk_fma_f32 v[176:177], v[158:159], s[16:17], v[48:49] op_sel_hi:[1,0,1]
	v_pk_fma_f32 v[178:179], v[158:159], s[16:17], v[48:49] op_sel_hi:[1,0,1] neg_lo:[0,0,1] neg_hi:[0,0,1]
	v_mov_b32_e32 v48, v176
	v_mov_b32_e32 v49, v179
	v_pk_add_f32 v[48:49], v[48:49], v[50:51]
	v_pk_mul_f32 v[50:51], v[156:157], s[20:21] op_sel:[1,0] op_sel_hi:[0,0]
	v_pk_fma_f32 v[72:73], v[158:159], s[8:9], v[50:51] op_sel_hi:[1,0,1]
	v_pk_fma_f32 v[168:169], v[158:159], s[8:9], v[50:51] op_sel_hi:[1,0,1] neg_lo:[0,0,1] neg_hi:[0,0,1]
	v_mov_b32_e32 v50, v72
	v_mov_b32_e32 v51, v169
	v_pk_add_f32 v[166:167], v[16:17], v[18:19] neg_lo:[0,1] neg_hi:[0,1]
	v_pk_add_f32 v[50:51], v[50:51], v[70:71]
	v_pk_add_f32 v[162:163], v[18:19], v[16:17]
	v_pk_mul_f32 v[70:71], v[166:167], s[40:41] op_sel:[1,0] op_sel_hi:[0,0]
	v_pk_fma_f32 v[238:239], v[162:163], s[8:9], v[70:71] op_sel_hi:[1,0,1]
	v_pk_fma_f32 v[240:241], v[162:163], s[8:9], v[70:71] op_sel_hi:[1,0,1] neg_lo:[0,0,1] neg_hi:[0,0,1]
	v_mov_b32_e32 v70, v238
	v_mov_b32_e32 v71, v241
	v_pk_add_f32 v[46:47], v[70:71], v[46:47]
	v_accvgpr_write_b32 a27, v75
	v_accvgpr_write_b32 a2, v46
	;; [unrolled: 1-line block ×3, first 2 shown]
	v_pk_mul_f32 v[46:47], v[166:167], s[44:45] op_sel:[1,0] op_sel_hi:[0,0]
	v_pk_fma_f32 v[212:213], v[162:163], s[36:37], v[46:47] op_sel_hi:[1,0,1]
	v_pk_fma_f32 v[218:219], v[162:163], s[36:37], v[46:47] op_sel_hi:[1,0,1] neg_lo:[0,0,1] neg_hi:[0,0,1]
	v_mov_b32_e32 v46, v212
	v_mov_b32_e32 v47, v219
	v_pk_add_f32 v[36:37], v[46:47], v[36:37]
	v_pk_mul_f32 v[46:47], v[130:131], s[48:49] op_sel_hi:[1,0]
	v_accvgpr_write_b32 a4, v36
	v_accvgpr_write_b32 a5, v37
	v_pk_mul_f32 v[36:37], v[166:167], s[38:39] op_sel:[1,0] op_sel_hi:[0,0]
	v_pk_fma_f32 v[204:205], v[162:163], s[6:7], v[36:37] op_sel_hi:[1,0,1]
	v_pk_fma_f32 v[206:207], v[162:163], s[6:7], v[36:37] op_sel_hi:[1,0,1] neg_lo:[0,0,1] neg_hi:[0,0,1]
	v_mov_b32_e32 v36, v204
	v_mov_b32_e32 v37, v207
	v_pk_add_f32 v[36:37], v[36:37], v[48:49]
	v_pk_fma_f32 v[194:195], v[60:61], s[30:31], v[46:47] op_sel:[0,0,1] op_sel_hi:[1,0,0]
	v_accvgpr_write_b32 a6, v36
	v_accvgpr_write_b32 a7, v37
	v_pk_mul_f32 v[36:37], v[166:167], s[18:19] op_sel:[1,0] op_sel_hi:[0,0]
	v_pk_fma_f32 v[198:199], v[162:163], s[16:17], v[36:37] op_sel_hi:[1,0,1]
	v_pk_fma_f32 v[200:201], v[162:163], s[16:17], v[36:37] op_sel_hi:[1,0,1] neg_lo:[0,0,1] neg_hi:[0,0,1]
	v_mov_b32_e32 v36, v198
	v_mov_b32_e32 v37, v201
	v_pk_add_f32 v[36:37], v[36:37], v[50:51]
	v_pk_fma_f32 v[196:197], v[60:61], s[30:31], v[46:47] op_sel:[0,0,1] op_sel_hi:[1,0,0] neg_lo:[0,0,1] neg_hi:[0,0,1]
	v_accvgpr_write_b32 a8, v36
	v_accvgpr_write_b32 a9, v37
	v_pk_mul_f32 v[36:37], v[128:129], s[18:19] op_sel_hi:[1,0]
	v_mov_b32_e32 v46, v194
	v_pk_fma_f32 v[186:187], v[38:39], s[16:17], v[36:37] op_sel:[0,0,1] op_sel_hi:[1,0,0]
	v_pk_fma_f32 v[188:189], v[38:39], s[16:17], v[36:37] op_sel:[0,0,1] op_sel_hi:[1,0,0] neg_lo:[0,0,1] neg_hi:[0,0,1]
	v_mov_b32_e32 v36, v186
	v_mov_b32_e32 v37, v189
	;; [unrolled: 1-line block ×3, first 2 shown]
	v_pk_add_f32 v[36:37], v[36:37], v[0:1]
	v_accvgpr_write_b32 a31, v73
	v_pk_add_f32 v[36:37], v[46:47], v[36:37]
	v_pk_mul_f32 v[46:47], v[44:45], s[20:21] op_sel_hi:[1,0]
	v_pk_mul_f32 v[74:75], v[110:111], s[50:51] op_sel:[1,0] op_sel_hi:[0,0]
	v_pk_fma_f32 v[214:215], v[250:251], s[8:9], v[46:47] op_sel:[0,0,1] op_sel_hi:[1,0,0]
	v_pk_fma_f32 v[216:217], v[250:251], s[8:9], v[46:47] op_sel:[0,0,1] op_sel_hi:[1,0,0] neg_lo:[0,0,1] neg_hi:[0,0,1]
	v_mov_b32_e32 v46, v214
	v_mov_b32_e32 v47, v217
	v_pk_add_f32 v[36:37], v[46:47], v[36:37]
	v_pk_mul_f32 v[46:47], v[110:111], s[44:45] op_sel:[1,0] op_sel_hi:[0,0]
	v_pk_fma_f32 v[224:225], v[108:109], s[36:37], v[46:47] op_sel_hi:[1,0,1]
	v_pk_fma_f32 v[226:227], v[108:109], s[36:37], v[46:47] op_sel_hi:[1,0,1] neg_lo:[0,0,1] neg_hi:[0,0,1]
	v_mov_b32_e32 v46, v224
	v_mov_b32_e32 v47, v227
	v_pk_add_f32 v[36:37], v[46:47], v[36:37]
	v_pk_mul_f32 v[46:47], v[120:121], s[42:43] op_sel:[1,0] op_sel_hi:[0,0]
	v_pk_fma_f32 v[70:71], v[116:117], s[2:3], v[46:47] op_sel_hi:[1,0,1]
	v_pk_fma_f32 v[228:229], v[116:117], s[2:3], v[46:47] op_sel_hi:[1,0,1] neg_lo:[0,0,1] neg_hi:[0,0,1]
	;; [unrolled: 6-line block ×5, first 2 shown]
	v_mov_b32_e32 v46, v242
	v_mov_b32_e32 v47, v245
	v_pk_add_f32 v[48:49], v[46:47], v[36:37]
	v_pk_mul_f32 v[36:37], v[128:129], s[44:45] op_sel_hi:[1,0]
	v_pk_mul_f32 v[46:47], v[130:131], s[46:47] op_sel_hi:[1,0]
	v_pk_fma_f32 v[246:247], v[38:39], s[36:37], v[36:37] op_sel:[0,0,1] op_sel_hi:[1,0,0]
	v_pk_fma_f32 v[248:249], v[38:39], s[36:37], v[36:37] op_sel:[0,0,1] op_sel_hi:[1,0,0] neg_lo:[0,0,1] neg_hi:[0,0,1]
	v_mov_b32_e32 v36, v246
	v_mov_b32_e32 v37, v249
	v_pk_fma_f32 v[252:253], v[60:61], s[10:11], v[46:47] op_sel:[0,0,1] op_sel_hi:[1,0,0]
	v_pk_fma_f32 v[254:255], v[60:61], s[10:11], v[46:47] op_sel:[0,0,1] op_sel_hi:[1,0,0] neg_lo:[0,0,1] neg_hi:[0,0,1]
	v_mov_b32_e32 v46, v252
	v_mov_b32_e32 v47, v255
	v_pk_add_f32 v[36:37], v[36:37], v[0:1]
	v_pk_fma_f32 v[84:85], v[108:109], s[16:17], v[74:75] op_sel_hi:[1,0,1] neg_lo:[0,0,1] neg_hi:[0,0,1]
	v_pk_add_f32 v[36:37], v[46:47], v[36:37]
	v_pk_mul_f32 v[46:47], v[44:45], s[22:23] op_sel_hi:[1,0]
	v_pk_mul_f32 v[128:129], v[128:129], s[26:27] op_sel_hi:[1,0]
	v_pk_fma_f32 v[50:51], v[250:251], s[2:3], v[46:47] op_sel:[0,0,1] op_sel_hi:[1,0,0]
	v_pk_fma_f32 v[46:47], v[250:251], s[2:3], v[46:47] op_sel:[0,0,1] op_sel_hi:[1,0,0] neg_lo:[0,0,1] neg_hi:[0,0,1]
	v_mov_b32_e32 v72, v50
	v_mov_b32_e32 v73, v47
	v_pk_add_f32 v[72:73], v[72:73], v[36:37]
	v_pk_fma_f32 v[36:37], v[108:109], s[16:17], v[74:75] op_sel_hi:[1,0,1]
	v_mov_b32_e32 v75, v85
	v_mov_b32_e32 v74, v36
	v_pk_add_f32 v[76:77], v[74:75], v[72:73]
	v_pk_mul_f32 v[72:73], v[120:121], s[20:21] op_sel:[1,0] op_sel_hi:[0,0]
	v_pk_fma_f32 v[74:75], v[116:117], s[8:9], v[72:73] op_sel_hi:[1,0,1]
	v_pk_fma_f32 v[72:73], v[116:117], s[8:9], v[72:73] op_sel_hi:[1,0,1] neg_lo:[0,0,1] neg_hi:[0,0,1]
	v_mov_b32_e32 v88, v74
	v_mov_b32_e32 v89, v73
	v_pk_add_f32 v[88:89], v[88:89], v[76:77]
	v_pk_mul_f32 v[76:77], v[132:133], s[26:27] op_sel:[1,0] op_sel_hi:[0,0]
	v_pk_fma_f32 v[90:91], v[124:125], s[24:25], v[76:77] op_sel_hi:[1,0,1]
	v_pk_fma_f32 v[76:77], v[124:125], s[24:25], v[76:77] op_sel_hi:[1,0,1] neg_lo:[0,0,1] neg_hi:[0,0,1]
	v_mov_b32_e32 v96, v90
	v_mov_b32_e32 v97, v77
	v_pk_add_f32 v[88:89], v[96:97], v[88:89]
	v_pk_mul_f32 v[96:97], v[156:157], s[38:39] op_sel:[1,0] op_sel_hi:[0,0]
	v_pk_fma_f32 v[98:99], v[158:159], s[6:7], v[96:97] op_sel_hi:[1,0,1]
	v_pk_fma_f32 v[96:97], v[158:159], s[6:7], v[96:97] op_sel_hi:[1,0,1] neg_lo:[0,0,1] neg_hi:[0,0,1]
	v_mov_b32_e32 v100, v98
	v_mov_b32_e32 v101, v97
	v_pk_add_f32 v[88:89], v[100:101], v[88:89]
	v_pk_mul_f32 v[100:101], v[166:167], s[34:35] op_sel:[1,0] op_sel_hi:[0,0]
	v_pk_fma_f32 v[106:107], v[162:163], s[30:31], v[100:101] op_sel_hi:[1,0,1]
	v_pk_fma_f32 v[100:101], v[162:163], s[30:31], v[100:101] op_sel_hi:[1,0,1] neg_lo:[0,0,1] neg_hi:[0,0,1]
	v_mov_b32_e32 v136, v106
	v_mov_b32_e32 v137, v101
	v_pk_add_f32 v[88:89], v[136:137], v[88:89]
	v_pk_fma_f32 v[136:137], v[38:39], s[24:25], v[128:129] op_sel:[0,0,1] op_sel_hi:[1,0,0]
	v_pk_fma_f32 v[128:129], v[38:39], s[24:25], v[128:129] op_sel:[0,0,1] op_sel_hi:[1,0,0] neg_lo:[0,0,1] neg_hi:[0,0,1]
	v_pk_mul_f32 v[38:39], v[130:131], s[40:41] op_sel_hi:[1,0]
	v_accvgpr_read_b32 v36, a0
	v_pk_fma_f32 v[140:141], v[60:61], s[8:9], v[38:39] op_sel:[0,0,1] op_sel_hi:[1,0,0]
	v_pk_fma_f32 v[130:131], v[60:61], s[8:9], v[38:39] op_sel:[0,0,1] op_sel_hi:[1,0,0] neg_lo:[0,0,1] neg_hi:[0,0,1]
	v_pk_mul_f32 v[38:39], v[44:45], s[44:45] op_sel_hi:[1,0]
	v_mov_b32_e32 v60, v140
	v_pk_fma_f32 v[144:145], v[250:251], s[36:37], v[38:39] op_sel:[0,0,1] op_sel_hi:[1,0,0]
	v_pk_fma_f32 v[44:45], v[250:251], s[36:37], v[38:39] op_sel:[0,0,1] op_sel_hi:[1,0,0] neg_lo:[0,0,1] neg_hi:[0,0,1]
	v_pk_mul_f32 v[38:39], v[110:111], s[38:39] op_sel:[1,0] op_sel_hi:[0,0]
	v_pk_fma_f32 v[146:147], v[108:109], s[6:7], v[38:39] op_sel_hi:[1,0,1]
	v_pk_fma_f32 v[108:109], v[108:109], s[6:7], v[38:39] op_sel_hi:[1,0,1] neg_lo:[0,0,1] neg_hi:[0,0,1]
	v_pk_mul_f32 v[38:39], v[120:121], s[18:19] op_sel:[1,0] op_sel_hi:[0,0]
	v_pk_fma_f32 v[148:149], v[116:117], s[16:17], v[38:39] op_sel_hi:[1,0,1]
	v_pk_fma_f32 v[110:111], v[116:117], s[16:17], v[38:39] op_sel_hi:[1,0,1] neg_lo:[0,0,1] neg_hi:[0,0,1]
	;; [unrolled: 3-line block ×4, first 2 shown]
	v_mov_b32_e32 v38, v136
	v_mov_b32_e32 v39, v129
	;; [unrolled: 1-line block ×3, first 2 shown]
	v_pk_add_f32 v[38:39], v[38:39], v[0:1]
	s_load_dwordx2 s[6:7], s[0:1], 0x20
	s_nop 0
	s_load_dwordx2 s[0:1], s[0:1], 0x8
	v_pk_add_f32 v[38:39], v[60:61], v[38:39]
	v_mov_b32_e32 v60, v144
	v_mov_b32_e32 v61, v45
	v_pk_add_f32 v[38:39], v[60:61], v[38:39]
	v_mov_b32_e32 v60, v146
	v_mov_b32_e32 v61, v109
	;; [unrolled: 3-line block ×5, first 2 shown]
	v_pk_add_f32 v[38:39], v[60:61], v[38:39]
	v_pk_mul_f32 v[60:61], v[166:167], s[26:27] op_sel:[1,0] op_sel_hi:[0,0]
	v_pk_fma_f32 v[124:125], v[162:163], s[24:25], v[60:61] op_sel_hi:[1,0,1]
	v_pk_fma_f32 v[132:133], v[162:163], s[24:25], v[60:61] op_sel_hi:[1,0,1] neg_lo:[0,0,1] neg_hi:[0,0,1]
	v_pk_mul_f32 v[60:61], v[166:167], s[42:43] op_sel:[1,0] op_sel_hi:[0,0]
	v_pk_fma_f32 v[120:121], v[162:163], s[2:3], v[60:61] op_sel_hi:[1,0,1]
	v_pk_fma_f32 v[158:159], v[162:163], s[2:3], v[60:61] op_sel_hi:[1,0,1] neg_lo:[0,0,1] neg_hi:[0,0,1]
	v_mov_b32_e32 v60, v120
	v_mov_b32_e32 v61, v159
	v_pk_add_f32 v[60:61], v[60:61], v[38:39]
	v_mov_b32_e32 v38, v124
	v_mov_b32_e32 v39, v133
	v_pk_add_f32 v[38:39], v[38:39], v[126:127]
	v_mul_lo_u16_e32 v74, 17, v36
	s_waitcnt lgkmcnt(0)
	s_barrier
	s_and_saveexec_b64 s[2:3], s[4:5]
	s_cbranch_execz .LBB0_7
; %bb.6:
	v_pk_add_f32 v[2:3], v[2:3], v[0:1]
	v_mov_b32_e32 v63, v53
	v_pk_add_f32 v[2:3], v[28:29], v[2:3]
	v_mov_b32_e32 v53, v57
	;; [unrolled: 2-line block ×9, first 2 shown]
	v_pk_add_f32 v[2:3], v[4:5], v[2:3]
	v_pk_add_f32 v[4:5], v[42:43], v[0:1]
	v_accvgpr_read_b32 v87, a11
	v_pk_add_f32 v[4:5], v[86:87], v[4:5]
	v_accvgpr_read_b32 v103, a15
	v_pk_add_f32 v[2:3], v[6:7], v[2:3]
	v_pk_add_f32 v[4:5], v[102:103], v[4:5]
	v_accvgpr_read_b32 v139, a25
	v_pk_add_f32 v[2:3], v[8:9], v[2:3]
	v_pk_add_f32 v[4:5], v[138:139], v[4:5]
	v_mov_b32_e32 v165, v123
	v_pk_add_f32 v[2:3], v[10:11], v[2:3]
	v_pk_add_f32 v[4:5], v[164:165], v[4:5]
	v_mov_b32_e32 v193, v183
	;; [unrolled: 3-line block ×4, first 2 shown]
	v_add_lshl_u32 v16, v67, v74, 3
	v_pk_add_f32 v[2:3], v[32:33], v[2:3]
	v_pk_add_f32 v[4:5], v[132:133], v[4:5]
	ds_write2_b64 v16, v[2:3], v[4:5] offset1:1
	v_pk_add_f32 v[2:3], v[34:35], v[0:1]
	v_pk_add_f32 v[4:5], v[58:59], v[0:1]
	v_mov_b32_e32 v81, v79
	v_mov_b32_e32 v79, v83
	;; [unrolled: 1-line block ×3, first 2 shown]
	v_pk_add_f32 v[2:3], v[40:41], v[2:3]
	v_accvgpr_read_b32 v93, a13
	v_pk_add_f32 v[4:5], v[56:57], v[4:5]
	v_pk_add_f32 v[2:3], v[92:93], v[2:3]
	v_accvgpr_read_b32 v123, a21
	v_mov_b32_e32 v153, v113
	v_pk_add_f32 v[4:5], v[82:83], v[4:5]
	v_accvgpr_read_b32 v113, a17
	v_pk_add_f32 v[2:3], v[122:123], v[2:3]
	v_pk_add_f32 v[4:5], v[112:113], v[4:5]
	v_accvgpr_read_b32 v135, a23
	v_pk_add_f32 v[2:3], v[152:153], v[2:3]
	v_mov_b32_e32 v173, v171
	v_pk_add_f32 v[4:5], v[134:135], v[4:5]
	v_mov_b32_e32 v161, v119
	;; [unrolled: 2-line block ×6, first 2 shown]
	v_pk_add_f32 v[2:3], v[240:241], v[2:3]
	v_pk_add_f32 v[4:5], v[218:219], v[4:5]
	ds_write2_b64 v16, v[2:3], v[4:5] offset0:2 offset1:3
	v_pk_add_f32 v[2:3], v[52:53], v[0:1]
	v_pk_add_f32 v[4:5], v[62:63], v[0:1]
	;; [unrolled: 1-line block ×4, first 2 shown]
	v_mov_b32_e32 v95, v181
	v_mov_b32_e32 v105, v175
	v_pk_add_f32 v[2:3], v[78:79], v[2:3]
	v_pk_add_f32 v[4:5], v[80:81], v[4:5]
	v_mov_b32_e32 v115, v211
	v_pk_add_f32 v[2:3], v[104:105], v[2:3]
	v_accvgpr_read_b32 v119, a19
	v_pk_add_f32 v[4:5], v[94:95], v[4:5]
	v_pk_add_f32 v[2:3], v[118:119], v[2:3]
	v_accvgpr_read_b32 v151, a29
	v_pk_add_f32 v[4:5], v[114:115], v[4:5]
	v_accvgpr_read_b32 v143, a27
	v_pk_add_f32 v[2:3], v[150:151], v[2:3]
	v_mov_b32_e32 v179, v177
	v_pk_add_f32 v[4:5], v[142:143], v[4:5]
	v_accvgpr_read_b32 v169, a31
	v_pk_add_f32 v[2:3], v[178:179], v[2:3]
	v_mov_b32_e32 v207, v205
	v_pk_add_f32 v[4:5], v[168:169], v[4:5]
	v_mov_b32_e32 v201, v199
	v_mov_b32_e32 v129, v137
	v_pk_add_f32 v[2:3], v[206:207], v[2:3]
	v_pk_add_f32 v[4:5], v[200:201], v[4:5]
	v_mov_b32_e32 v189, v187
	v_mov_b32_e32 v249, v247
	;; [unrolled: 1-line block ×3, first 2 shown]
	ds_write2_b64 v16, v[2:3], v[4:5] offset0:4 offset1:5
	v_pk_add_f32 v[2:3], v[188:189], v[0:1]
	v_mov_b32_e32 v197, v195
	v_pk_add_f32 v[4:5], v[248:249], v[0:1]
	v_mov_b32_e32 v255, v253
	;; [unrolled: 2-line block ×20, first 2 shown]
	v_pk_add_f32 v[0:1], v[116:117], v[0:1]
	v_pk_add_f32 v[2:3], v[244:245], v[2:3]
	;; [unrolled: 1-line block ×4, first 2 shown]
	ds_write2_b64 v16, v[2:3], v[4:5] offset0:6 offset1:7
	ds_write2_b64 v16, v[0:1], v[60:61] offset0:8 offset1:9
	;; [unrolled: 1-line block ×3, first 2 shown]
	v_accvgpr_read_b32 v0, a6
	v_accvgpr_read_b32 v2, a8
	;; [unrolled: 1-line block ×4, first 2 shown]
	ds_write2_b64 v16, v[2:3], v[0:1] offset0:12 offset1:13
	v_accvgpr_read_b32 v0, a2
	v_accvgpr_read_b32 v2, a4
	;; [unrolled: 1-line block ×4, first 2 shown]
	ds_write2_b64 v16, v[2:3], v[0:1] offset0:14 offset1:15
	ds_write_b64 v16, v[38:39] offset:128
.LBB0_7:
	s_or_b64 exec, exec, s[2:3]
	v_accvgpr_read_b32 v212, a0
	v_add_lshl_u32 v69, v67, v212, 3
	v_add_u32_e32 v0, 0x800, v69
	s_waitcnt lgkmcnt(0)
	s_barrier
	ds_read2_b64 v[24:27], v69 offset1:51
	ds_read2_b64 v[16:19], v69 offset0:102 offset1:187
	ds_read2_b64 v[28:31], v0 offset0:118 offset1:169
	v_add_u32_e32 v0, 0x400, v69
	ds_read2_b64 v[20:23], v0 offset0:110 offset1:161
	ds_read_b64 v[32:33], v69 offset:3808
	v_cmp_gt_u16_e64 s[2:3], 34, v212
	s_and_saveexec_b64 s[8:9], s[2:3]
	s_cbranch_execz .LBB0_9
; %bb.8:
	ds_read2_b64 v[0:3], v0 offset0:25 offset1:212
	ds_read_b64 v[48:49], v69 offset:4216
	s_waitcnt lgkmcnt(1)
	v_mov_b64_e32 v[60:61], v[0:1]
	v_mov_b64_e32 v[88:89], v[2:3]
.LBB0_9:
	s_or_b64 exec, exec, s[8:9]
	s_movk_i32 s8, 0xf1
	v_add_u16_e32 v0, 0x99, v212
	v_mul_lo_u16_sdwa v1, v0, s8 dst_sel:DWORD dst_unused:UNUSED_PAD src0_sel:BYTE_0 src1_sel:DWORD
	v_mul_lo_u16_sdwa v4, v212, s8 dst_sel:DWORD dst_unused:UNUSED_PAD src0_sel:BYTE_0 src1_sel:DWORD
	v_lshrrev_b16_e32 v58, 12, v1
	v_mul_lo_u16_e32 v1, 17, v58
	v_lshrrev_b16_e32 v34, 12, v4
	v_mov_b32_e32 v12, 4
	v_sub_u16_e32 v213, v0, v1
	v_mul_lo_u16_e32 v4, 17, v34
	v_add_u16_e32 v5, 51, v212
	v_lshlrev_b32_sdwa v0, v12, v213 dst_sel:DWORD dst_unused:UNUSED_PAD src0_sel:DWORD src1_sel:BYTE_0
	v_sub_u16_e32 v35, v212, v4
	v_mul_lo_u16_sdwa v6, v5, s8 dst_sel:DWORD dst_unused:UNUSED_PAD src0_sel:BYTE_0 src1_sel:DWORD
	global_load_dwordx4 v[0:3], v0, s[0:1]
	v_lshlrev_b16_e32 v4, 1, v35
	v_lshrrev_b16_e32 v37, 12, v6
	v_and_b32_e32 v4, 0xfe, v4
	v_mul_lo_u16_e32 v6, 17, v37
	v_lshlrev_b32_e32 v4, 3, v4
	v_sub_u16_e32 v41, v5, v6
	global_load_dwordx4 v[4:7], v4, s[0:1]
	v_lshlrev_b32_sdwa v8, v12, v41 dst_sel:DWORD dst_unused:UNUSED_PAD src0_sel:DWORD src1_sel:BYTE_0
	global_load_dwordx4 v[8:11], v8, s[0:1]
	v_add_u16_e32 v13, 0x66, v212
	v_mul_lo_u16_sdwa v14, v13, s8 dst_sel:DWORD dst_unused:UNUSED_PAD src0_sel:BYTE_0 src1_sel:DWORD
	v_lshrrev_b16_e32 v59, 12, v14
	v_mul_lo_u16_e32 v14, 17, v59
	v_sub_u16_e32 v62, v13, v14
	v_lshlrev_b32_sdwa v12, v12, v62 dst_sel:DWORD dst_unused:UNUSED_PAD src0_sel:DWORD src1_sel:BYTE_0
	global_load_dwordx4 v[12:15], v12, s[0:1]
	v_mul_u32_u24_e32 v37, 51, v37
	v_mad_legacy_u16 v34, v34, 51, v35
	v_add_u32_sdwa v35, v37, v41 dst_sel:DWORD dst_unused:UNUSED_PAD src0_sel:DWORD src1_sel:BYTE_0
	v_and_b32_e32 v34, 0xff, v34
	v_add_lshl_u32 v214, v67, v35, 3
	v_add_lshl_u32 v215, v67, v34, 3
	v_mov_b32_e32 v36, v89
	s_waitcnt lgkmcnt(0)
	v_mov_b32_e32 v40, v49
	s_load_dwordx4 s[8:11], s[6:7], 0x0
	s_mov_b32 s6, 0x3f5db3d7
	s_waitcnt lgkmcnt(0)
	s_barrier
	v_mul_u32_u24_e32 v216, 51, v58
	s_waitcnt vmcnt(3)
	v_pk_mul_f32 v[34:35], v[88:89], v[0:1]
	v_pk_mul_f32 v[42:43], v[48:49], v[2:3]
	v_mov_b32_e32 v34, v1
	v_mov_b32_e32 v42, v3
	;; [unrolled: 1-line block ×3, first 2 shown]
	v_pk_mul_f32 v[46:47], v[88:89], v[34:35]
	v_mov_b32_e32 v50, v43
	v_pk_mul_f32 v[52:53], v[48:49], v[42:43]
	v_pk_fma_f32 v[34:35], v[88:89], v[0:1], v[44:45] neg_lo:[0,0,1] neg_hi:[0,0,1]
	v_pk_fma_f32 v[42:43], v[36:37], v[0:1], v[46:47]
	v_pk_fma_f32 v[36:37], v[48:49], v[2:3], v[50:51] neg_lo:[0,0,1] neg_hi:[0,0,1]
	v_pk_fma_f32 v[44:45], v[40:41], v[2:3], v[52:53]
	s_waitcnt vmcnt(2)
	v_pk_mul_f32 v[40:41], v[18:19], v[4:5] op_sel:[0,1]
	v_mov_b32_e32 v46, v7
	s_waitcnt vmcnt(1)
	v_pk_mul_f32 v[48:49], v[20:21], v[8:9] op_sel:[0,1]
	v_mov_b32_e32 v50, v11
	v_mov_b32_e32 v52, v34
	;; [unrolled: 1-line block ×5, first 2 shown]
	v_pk_fma_f32 v[56:57], v[18:19], v[4:5], v[40:41] op_sel:[0,0,1] op_sel_hi:[1,1,0] neg_lo:[0,0,1] neg_hi:[0,0,1]
	v_pk_fma_f32 v[18:19], v[18:19], v[4:5], v[40:41] op_sel:[0,0,1] op_sel_hi:[1,0,0]
	v_pk_mul_f32 v[40:41], v[28:29], v[46:47] op_sel_hi:[1,0]
	v_pk_fma_f32 v[46:47], v[20:21], v[8:9], v[48:49] op_sel:[0,0,1] op_sel_hi:[1,1,0] neg_lo:[0,0,1] neg_hi:[0,0,1]
	v_pk_fma_f32 v[20:21], v[20:21], v[8:9], v[48:49] op_sel:[0,0,1] op_sel_hi:[1,0,0]
	v_pk_mul_f32 v[48:49], v[30:31], v[50:51] op_sel_hi:[1,0]
	v_pk_add_f32 v[50:51], v[52:53], v[54:55]
	v_pk_add_f32 v[52:53], v[52:53], v[54:55] neg_lo:[0,1] neg_hi:[0,1]
	v_mov_b32_e32 v57, v19
	v_pk_fma_f32 v[54:55], v[28:29], v[6:7], v[40:41] op_sel:[0,0,1] op_sel_hi:[1,1,0] neg_lo:[0,0,1] neg_hi:[0,0,1]
	v_pk_fma_f32 v[18:19], v[28:29], v[6:7], v[40:41] op_sel:[0,0,1] op_sel_hi:[1,0,0]
	v_mov_b32_e32 v47, v21
	v_pk_fma_f32 v[20:21], v[50:51], 0.5, v[60:61] op_sel_hi:[1,0,1] neg_lo:[1,0,0] neg_hi:[1,0,0]
	v_mov_b32_e32 v55, v19
	v_pk_add_f32 v[50:51], v[24:25], v[56:57]
	v_pk_mul_f32 v[40:41], v[52:53], s[6:7] op_sel_hi:[1,0]
	v_pk_add_f32 v[50:51], v[50:51], v[54:55]
	v_pk_add_f32 v[52:53], v[56:57], v[54:55]
	v_pk_add_f32 v[54:55], v[56:57], v[54:55] neg_lo:[0,1] neg_hi:[0,1]
	v_pk_fma_f32 v[24:25], v[52:53], 0.5, v[24:25] op_sel_hi:[1,0,1] neg_lo:[1,0,0] neg_hi:[1,0,0]
	v_pk_mul_f32 v[52:53], v[54:55], s[6:7] op_sel_hi:[1,0]
	v_pk_fma_f32 v[28:29], v[30:31], v[10:11], v[48:49] op_sel:[0,0,1] op_sel_hi:[1,1,0] neg_lo:[0,0,1] neg_hi:[0,0,1]
	v_pk_add_f32 v[54:55], v[24:25], v[52:53] op_sel:[0,1] op_sel_hi:[1,0]
	v_pk_add_f32 v[24:25], v[24:25], v[52:53] op_sel:[0,1] op_sel_hi:[1,0] neg_lo:[0,1] neg_hi:[0,1]
	v_mov_b32_e32 v52, v54
	v_mov_b32_e32 v53, v25
	;; [unrolled: 1-line block ×3, first 2 shown]
	ds_write2_b64 v215, v[50:51], v[52:53] offset1:17
	ds_write_b64 v215, v[24:25] offset:272
	v_pk_fma_f32 v[24:25], v[30:31], v[10:11], v[48:49] op_sel:[0,0,1] op_sel_hi:[1,0,0]
	v_pk_add_f32 v[18:19], v[20:21], v[40:41] op_sel:[0,1] op_sel_hi:[1,0] neg_lo:[0,1] neg_hi:[0,1]
	v_mov_b32_e32 v29, v25
	v_pk_add_f32 v[24:25], v[26:27], v[46:47]
	v_pk_add_f32 v[30:31], v[46:47], v[28:29]
	;; [unrolled: 1-line block ×3, first 2 shown]
	v_pk_add_f32 v[28:29], v[46:47], v[28:29] neg_lo:[0,1] neg_hi:[0,1]
	v_pk_fma_f32 v[26:27], v[30:31], 0.5, v[26:27] op_sel_hi:[1,0,1] neg_lo:[1,0,0] neg_hi:[1,0,0]
	v_pk_mul_f32 v[28:29], v[28:29], s[6:7] op_sel_hi:[1,0]
	v_pk_add_f32 v[20:21], v[20:21], v[40:41] op_sel:[0,1] op_sel_hi:[1,0]
	v_pk_add_f32 v[30:31], v[26:27], v[28:29] op_sel:[0,1] op_sel_hi:[1,0]
	v_pk_add_f32 v[26:27], v[26:27], v[28:29] op_sel:[0,1] op_sel_hi:[1,0] neg_lo:[0,1] neg_hi:[0,1]
	v_mov_b32_e32 v40, v18
	v_mov_b32_e32 v28, v30
	;; [unrolled: 1-line block ×3, first 2 shown]
	v_mul_u32_u24_e32 v18, 51, v59
	ds_write2_b64 v214, v[24:25], v[28:29] offset1:17
	v_mov_b32_e32 v27, v31
	v_add_u32_sdwa v18, v18, v62 dst_sel:DWORD dst_unused:UNUSED_PAD src0_sel:DWORD src1_sel:BYTE_0
	s_waitcnt vmcnt(0)
	v_pk_mul_f32 v[24:25], v[22:23], v[12:13] op_sel:[0,1]
	ds_write_b64 v214, v[26:27] offset:272
	v_add_lshl_u32 v231, v67, v18, 3
	v_pk_fma_f32 v[26:27], v[22:23], v[12:13], v[24:25] op_sel:[0,0,1] op_sel_hi:[1,1,0] neg_lo:[0,0,1] neg_hi:[0,0,1]
	v_pk_fma_f32 v[22:23], v[22:23], v[12:13], v[24:25] op_sel:[0,0,1] op_sel_hi:[1,0,0]
	v_mov_b32_e32 v18, v15
	v_mov_b32_e32 v27, v23
	v_pk_mul_f32 v[22:23], v[32:33], v[18:19] op_sel_hi:[1,0]
	v_mov_b32_e32 v41, v21
	v_pk_fma_f32 v[24:25], v[32:33], v[14:15], v[22:23] op_sel:[0,0,1] op_sel_hi:[1,1,0] neg_lo:[0,0,1] neg_hi:[0,0,1]
	v_pk_fma_f32 v[22:23], v[32:33], v[14:15], v[22:23] op_sel:[0,0,1] op_sel_hi:[1,0,0]
	s_nop 0
	v_mov_b32_e32 v25, v23
	v_pk_add_f32 v[22:23], v[16:17], v[26:27]
	v_pk_add_f32 v[28:29], v[26:27], v[24:25]
	;; [unrolled: 1-line block ×3, first 2 shown]
	v_pk_add_f32 v[24:25], v[26:27], v[24:25] neg_lo:[0,1] neg_hi:[0,1]
	v_pk_fma_f32 v[16:17], v[28:29], 0.5, v[16:17] op_sel_hi:[1,0,1] neg_lo:[1,0,0] neg_hi:[1,0,0]
	v_pk_mul_f32 v[24:25], v[24:25], s[6:7] op_sel_hi:[1,0]
	s_nop 0
	v_pk_add_f32 v[26:27], v[16:17], v[24:25] op_sel:[0,1] op_sel_hi:[1,0]
	v_pk_add_f32 v[16:17], v[16:17], v[24:25] op_sel:[0,1] op_sel_hi:[1,0] neg_lo:[0,1] neg_hi:[0,1]
	v_mov_b32_e32 v24, v26
	v_mov_b32_e32 v25, v17
	;; [unrolled: 1-line block ×3, first 2 shown]
	ds_write2_b64 v231, v[22:23], v[24:25] offset1:17
	ds_write_b64 v231, v[16:17] offset:272
	s_mov_b64 s[6:7], exec
	v_accvgpr_read_b32 v219, a3
	v_accvgpr_read_b32 v221, a5
	;; [unrolled: 1-line block ×4, first 2 shown]
	s_and_b64 s[16:17], s[6:7], s[2:3]
	v_accvgpr_read_b32 v218, a2
	v_accvgpr_read_b32 v220, a4
	;; [unrolled: 1-line block ×4, first 2 shown]
	s_mov_b64 exec, s[16:17]
	s_cbranch_execz .LBB0_11
; %bb.10:
	v_mov_b32_e32 v16, v61
	v_pk_add_f32 v[16:17], v[16:17], v[42:43]
	v_pk_add_f32 v[22:23], v[60:61], v[34:35]
	v_pk_add_f32 v[16:17], v[16:17], v[44:45]
	v_pk_add_f32 v[22:23], v[22:23], v[36:37]
	v_add_u32_sdwa v17, v216, v213 dst_sel:DWORD dst_unused:UNUSED_PAD src0_sel:DWORD src1_sel:BYTE_0
	v_add_lshl_u32 v17, v67, v17, 3
	v_mov_b32_e32 v23, v16
	v_mov_b32_e32 v21, v19
	ds_write2_b64 v17, v[22:23], v[20:21] offset1:17
	ds_write_b64 v17, v[40:41] offset:272
.LBB0_11:
	s_or_b64 exec, exec, s[6:7]
	s_movk_i32 s6, 0x50
	v_mov_b64_e32 v[16:17], s[0:1]
	v_mad_u64_u32 v[36:37], s[0:1], v212, s6, v[16:17]
	s_waitcnt lgkmcnt(0)
	s_barrier
	global_load_dwordx4 v[16:19], v[36:37], off offset:272
	global_load_dwordx4 v[28:31], v[36:37], off offset:288
	global_load_dwordx4 v[24:27], v[36:37], off offset:304
	global_load_dwordx4 v[20:23], v[36:37], off offset:320
	global_load_dwordx4 v[32:35], v[36:37], off offset:336
	ds_read2_b64 v[42:45], v69 offset1:51
	ds_read_b64 v[36:37], v69 offset:816
	ds_read2_b64 v[46:49], v69 offset0:153 offset1:204
	v_add_u32_e32 v50, 0x400, v69
	v_add_u32_e32 v58, 0x800, v69
	ds_read2_b64 v[50:53], v50 offset0:127 offset1:178
	ds_read2_b64 v[54:57], v58 offset0:101 offset1:152
	;; [unrolled: 1-line block ×3, first 2 shown]
	s_waitcnt lgkmcnt(5)
	v_mov_b32_e32 v62, v43
	s_mov_b32 s0, 0xbf7d64f0
	s_mov_b32 s1, 0xbe11bafb
	;; [unrolled: 1-line block ×32, first 2 shown]
	s_waitcnt vmcnt(4)
	v_pk_mul_f32 v[70:71], v[44:45], v[16:17] op_sel:[1,0] op_sel_hi:[0,1]
	s_waitcnt lgkmcnt(4)
	v_pk_mul_f32 v[76:77], v[36:37], v[18:19] op_sel:[1,0] op_sel_hi:[0,1]
	v_mov_b32_e32 v64, v17
	s_waitcnt vmcnt(3)
	v_mov_b32_e32 v78, v29
	s_waitcnt lgkmcnt(3)
	v_pk_mul_f32 v[80:81], v[46:47], v[28:29] op_sel:[1,0] op_sel_hi:[0,1]
	v_mov_b32_e32 v82, v31
	v_pk_mul_f32 v[84:85], v[48:49], v[30:31] op_sel:[1,0] op_sel_hi:[0,1]
	v_mov_b32_e32 v108, v70
	v_mov_b32_e32 v109, v76
	v_mov_b32_e32 v76, v71
	v_mov_b32_e32 v72, v19
	v_pk_mul_f32 v[64:65], v[44:45], v[64:65] op_sel:[1,0] op_sel_hi:[0,1]
	v_pk_mul_f32 v[70:71], v[46:47], v[78:79] op_sel:[1,0] op_sel_hi:[0,1]
	;; [unrolled: 1-line block ×3, first 2 shown]
	v_mov_b32_e32 v82, v80
	v_mov_b32_e32 v83, v84
	;; [unrolled: 1-line block ×3, first 2 shown]
	v_pk_add_f32 v[76:77], v[108:109], v[76:77]
	v_pk_mul_f32 v[72:73], v[36:37], v[72:73] op_sel:[1,0] op_sel_hi:[0,1]
	v_pk_fma_f32 v[44:45], v[44:45], v[16:17], v[64:65] neg_lo:[0,0,1] neg_hi:[0,0,1]
	v_pk_add_f32 v[82:83], v[82:83], v[84:85]
	v_pk_add_f32 v[62:63], v[62:63], v[76:77]
	v_mov_b32_e32 v84, v77
	s_waitcnt vmcnt(2)
	v_mov_b32_e32 v86, v25
	s_waitcnt lgkmcnt(2)
	v_pk_mul_f32 v[88:89], v[50:51], v[24:25] op_sel:[1,0] op_sel_hi:[0,1]
	v_mov_b32_e32 v90, v27
	v_pk_mul_f32 v[92:93], v[52:53], v[26:27] op_sel:[1,0] op_sel_hi:[0,1]
	v_pk_fma_f32 v[72:73], v[36:37], v[18:19], v[72:73] neg_lo:[0,0,1] neg_hi:[0,0,1]
	v_pk_fma_f32 v[110:111], v[48:49], v[30:31], v[78:79] neg_lo:[0,0,1] neg_hi:[0,0,1]
	v_pk_add_f32 v[78:79], v[42:43], v[44:45]
	v_pk_add_f32 v[62:63], v[62:63], v[84:85]
	v_pk_mul_f32 v[80:81], v[50:51], v[86:87] op_sel:[1,0] op_sel_hi:[0,1]
	v_pk_mul_f32 v[86:87], v[52:53], v[90:91] op_sel:[1,0] op_sel_hi:[0,1]
	v_mov_b32_e32 v90, v88
	v_mov_b32_e32 v91, v92
	;; [unrolled: 1-line block ×3, first 2 shown]
	v_pk_fma_f32 v[108:109], v[46:47], v[28:29], v[70:71] neg_lo:[0,0,1] neg_hi:[0,0,1]
	v_pk_add_f32 v[78:79], v[78:79], v[72:73]
	v_pk_add_f32 v[62:63], v[62:63], v[82:83]
	v_mov_b32_e32 v84, v83
	s_waitcnt vmcnt(1)
	v_mov_b32_e32 v94, v21
	s_waitcnt lgkmcnt(1)
	v_pk_mul_f32 v[96:97], v[54:55], v[20:21] op_sel:[1,0] op_sel_hi:[0,1]
	v_mov_b32_e32 v98, v23
	v_pk_mul_f32 v[100:101], v[56:57], v[22:23] op_sel:[1,0] op_sel_hi:[0,1]
	v_pk_add_f32 v[46:47], v[90:91], v[92:93]
	v_pk_add_f32 v[78:79], v[78:79], v[108:109]
	;; [unrolled: 1-line block ×3, first 2 shown]
	v_pk_mul_f32 v[88:89], v[54:55], v[94:95] op_sel:[1,0] op_sel_hi:[0,1]
	v_pk_mul_f32 v[94:95], v[56:57], v[98:99] op_sel:[1,0] op_sel_hi:[0,1]
	v_mov_b32_e32 v98, v96
	v_mov_b32_e32 v99, v100
	;; [unrolled: 1-line block ×3, first 2 shown]
	v_pk_fma_f32 v[48:49], v[50:51], v[24:25], v[80:81] neg_lo:[0,0,1] neg_hi:[0,0,1]
	v_pk_add_f32 v[78:79], v[78:79], v[110:111]
	v_pk_add_f32 v[62:63], v[62:63], v[46:47]
	v_mov_b32_e32 v84, v47
	v_pk_fma_f32 v[50:51], v[52:53], v[26:27], v[86:87] neg_lo:[0,0,1] neg_hi:[0,0,1]
	v_pk_fma_f32 v[52:53], v[54:55], v[20:21], v[88:89] neg_lo:[0,0,1] neg_hi:[0,0,1]
	;; [unrolled: 1-line block ×3, first 2 shown]
	v_pk_add_f32 v[56:57], v[98:99], v[100:101]
	v_pk_add_f32 v[78:79], v[78:79], v[48:49]
	v_pk_add_f32 v[62:63], v[62:63], v[84:85]
	s_waitcnt vmcnt(0)
	v_mov_b32_e32 v102, v33
	s_waitcnt lgkmcnt(0)
	v_pk_mul_f32 v[104:105], v[58:59], v[32:33] op_sel:[1,0] op_sel_hi:[0,1]
	v_pk_add_f32 v[78:79], v[78:79], v[50:51]
	v_pk_add_f32 v[62:63], v[62:63], v[56:57]
	v_mov_b32_e32 v104, v35
	v_pk_mul_f32 v[106:107], v[60:61], v[34:35] op_sel:[1,0] op_sel_hi:[0,1]
	v_pk_mul_f32 v[96:97], v[58:59], v[102:103] op_sel:[1,0] op_sel_hi:[0,1]
	v_mov_b32_e32 v102, v105
	v_pk_add_f32 v[78:79], v[78:79], v[52:53]
	v_mov_b32_e32 v63, v62
	v_pk_mul_f32 v[104:105], v[60:61], v[104:105] op_sel:[1,0] op_sel_hi:[0,1]
	v_mov_b32_e32 v106, v107
	v_pk_fma_f32 v[70:71], v[58:59], v[32:33], v[96:97] neg_lo:[0,0,1] neg_hi:[0,0,1]
	v_pk_fma_f32 v[80:81], v[58:59], v[32:33], v[102:103] op_sel:[1,0,0] op_sel_hi:[0,1,1]
	v_pk_add_f32 v[78:79], v[78:79], v[54:55]
	v_pk_add_f32 v[62:63], v[62:63], v[56:57]
	v_pk_fma_f32 v[36:37], v[60:61], v[34:35], v[104:105] neg_lo:[0,0,1] neg_hi:[0,0,1]
	v_pk_fma_f32 v[58:59], v[60:61], v[34:35], v[106:107] op_sel:[1,0,0] op_sel_hi:[0,1,1]
	v_mov_b32_e32 v60, v70
	v_mov_b32_e32 v61, v80
	;; [unrolled: 1-line block ×5, first 2 shown]
	v_pk_add_f32 v[60:61], v[78:79], v[60:61]
	v_pk_add_f32 v[84:85], v[76:77], v[58:59] neg_lo:[0,1] neg_hi:[0,1]
	v_pk_add_f32 v[78:79], v[60:61], v[64:65]
	v_pk_add_f32 v[60:61], v[44:45], v[36:37]
	v_pk_add_f32 v[36:37], v[44:45], v[36:37] neg_lo:[0,1] neg_hi:[0,1]
	v_pk_add_f32 v[44:45], v[76:77], v[58:59]
	v_mov_b32_e32 v61, v36
	v_pk_add_f32 v[96:97], v[72:73], v[70:71]
	v_pk_add_f32 v[70:71], v[72:73], v[70:71] neg_lo:[0,1] neg_hi:[0,1]
	v_mov_b32_e32 v36, v84
	v_mov_b32_e32 v37, v44
	v_pk_mul_f32 v[86:87], v[60:61], s[16:17]
	v_mov_b32_e32 v97, v70
	v_pk_add_f32 v[72:73], v[76:77], v[80:81] op_sel:[1,0] neg_lo:[0,1] neg_hi:[0,1]
	v_pk_add_f32 v[70:71], v[76:77], v[80:81] op_sel_hi:[1,0]
	v_pk_fma_f32 v[44:45], v[84:85], s[0:1], v[86:87] neg_lo:[1,0,0] neg_hi:[1,0,0]
	v_pk_fma_f32 v[88:89], v[36:37], s[0:1], v[86:87]
	v_mov_b32_e32 v70, v72
	v_pk_mul_f32 v[76:77], v[60:61], s[34:35]
	v_pk_mul_f32 v[104:105], v[96:97], s[42:43]
	v_mov_b32_e32 v45, v89
	v_pk_fma_f32 v[80:81], v[84:85], s[22:23], v[76:77] neg_lo:[1,0,0] neg_hi:[1,0,0]
	v_pk_fma_f32 v[98:99], v[36:37], s[22:23], v[76:77]
	v_pk_fma_f32 v[76:77], v[36:37], s[22:23], v[76:77] neg_lo:[0,0,1] neg_hi:[0,0,1]
	v_pk_fma_f32 v[106:107], v[72:73], s[38:39], v[104:105] neg_lo:[1,0,0] neg_hi:[1,0,0]
	v_pk_fma_f32 v[112:113], v[70:71], s[38:39], v[104:105]
	v_pk_add_f32 v[90:91], v[42:43], v[44:45]
	v_pk_mul_f32 v[62:63], v[60:61], s[24:25]
	v_mov_b32_e32 v81, v99
	v_mov_b32_e32 v99, v77
	;; [unrolled: 1-line block ×3, first 2 shown]
	v_pk_fma_f32 v[44:45], v[84:85], s[6:7], v[62:63] neg_lo:[1,0,0] neg_hi:[1,0,0]
	v_pk_fma_f32 v[58:59], v[36:37], s[6:7], v[62:63]
	v_pk_add_f32 v[76:77], v[42:43], v[98:99]
	v_pk_mul_f32 v[98:99], v[96:97], s[40:41]
	v_pk_add_f32 v[90:91], v[106:107], v[90:91]
	v_pk_mul_f32 v[106:107], v[96:97], s[44:45]
	v_mov_b32_e32 v45, v59
	v_pk_mul_f32 v[64:65], v[60:61], s[30:31]
	v_pk_fma_f32 v[100:101], v[72:73], s[20:21], v[98:99] neg_lo:[1,0,0] neg_hi:[1,0,0]
	v_pk_fma_f32 v[102:103], v[70:71], s[20:21], v[98:99]
	v_pk_fma_f32 v[98:99], v[70:71], s[20:21], v[98:99] neg_lo:[0,0,1] neg_hi:[0,0,1]
	v_pk_fma_f32 v[114:115], v[72:73], s[28:29], v[106:107] neg_lo:[1,0,0] neg_hi:[1,0,0]
	v_pk_fma_f32 v[116:117], v[70:71], s[28:29], v[106:107]
	v_pk_add_f32 v[92:93], v[42:43], v[44:45]
	v_pk_fma_f32 v[94:95], v[84:85], s[18:19], v[64:65] neg_lo:[1,0,0] neg_hi:[1,0,0]
	v_pk_fma_f32 v[44:45], v[36:37], s[18:19], v[64:65]
	v_pk_add_f32 v[80:81], v[42:43], v[80:81]
	v_mov_b32_e32 v101, v103
	v_mov_b32_e32 v103, v99
	v_pk_mul_f32 v[98:99], v[96:97], s[24:25]
	v_mov_b32_e32 v115, v117
	v_pk_mul_f32 v[96:97], v[96:97], s[36:37]
	v_mov_b32_e32 v95, v45
	v_pk_add_f32 v[80:81], v[100:101], v[80:81]
	v_pk_fma_f32 v[100:101], v[72:73], s[6:7], v[98:99] neg_lo:[1,0,0] neg_hi:[1,0,0]
	v_pk_add_f32 v[92:93], v[114:115], v[92:93]
	v_pk_fma_f32 v[72:73], v[72:73], s[26:27], v[96:97] neg_lo:[1,0,0] neg_hi:[1,0,0]
	v_pk_fma_f32 v[114:115], v[70:71], s[26:27], v[96:97]
	v_pk_add_f32 v[94:95], v[42:43], v[94:95]
	v_mov_b32_e32 v73, v115
	v_pk_add_f32 v[72:73], v[72:73], v[94:95]
	v_pk_add_f32 v[94:95], v[108:109], v[54:55]
	v_pk_add_f32 v[54:55], v[108:109], v[54:55] neg_lo:[0,1] neg_hi:[0,1]
	v_pk_add_f32 v[108:109], v[82:83], v[56:57] op_sel_hi:[0,1]
	v_mov_b32_e32 v95, v54
	v_pk_add_f32 v[54:55], v[82:83], v[56:57] op_sel:[0,1] neg_lo:[0,1] neg_hi:[0,1]
	v_pk_mul_f32 v[118:119], v[94:95], s[16:17]
	v_mov_b32_e32 v108, v54
	v_pk_fma_f32 v[120:121], v[54:55], s[0:1], v[118:119] neg_lo:[1,0,0] neg_hi:[1,0,0]
	v_pk_fma_f32 v[122:123], v[108:109], s[0:1], v[118:119]
	v_pk_mul_f32 v[60:61], v[60:61], s[40:41]
	v_mov_b32_e32 v121, v123
	v_pk_add_f32 v[76:77], v[102:103], v[76:77]
	v_pk_fma_f32 v[102:103], v[70:71], s[6:7], v[98:99]
	v_pk_add_f32 v[80:81], v[120:121], v[80:81]
	v_pk_mul_f32 v[120:121], v[94:95], s[42:43]
	v_pk_fma_f32 v[84:85], v[84:85], s[20:21], v[60:61] neg_lo:[1,0,0] neg_hi:[1,0,0]
	v_pk_fma_f32 v[128:129], v[36:37], s[20:21], v[60:61]
	v_pk_fma_f32 v[60:61], v[36:37], s[20:21], v[60:61] neg_lo:[0,0,1] neg_hi:[0,0,1]
	v_pk_fma_f32 v[98:99], v[70:71], s[6:7], v[98:99] neg_lo:[0,0,1] neg_hi:[0,0,1]
	s_mov_b32 s20, 0x3f68dda4
	v_mov_b32_e32 v101, v103
	v_pk_fma_f32 v[124:125], v[54:55], s[38:39], v[120:121] neg_lo:[1,0,0] neg_hi:[1,0,0]
	v_pk_fma_f32 v[126:127], v[108:109], s[38:39], v[120:121]
	v_mov_b32_e32 v85, v129
	v_mov_b32_e32 v129, v61
	v_mov_b32_e32 v103, v99
	v_pk_fma_f32 v[98:99], v[108:109], s[38:39], v[120:121] neg_lo:[0,0,1] neg_hi:[0,0,1]
	s_mov_b32 s41, s20
	v_mov_b32_e32 v125, v127
	v_pk_add_f32 v[84:85], v[42:43], v[84:85]
	v_pk_add_f32 v[60:61], v[42:43], v[128:129]
	v_mov_b32_e32 v127, v99
	v_pk_mul_f32 v[98:99], v[94:95], s[40:41]
	v_pk_add_f32 v[84:85], v[100:101], v[84:85]
	v_pk_add_f32 v[60:61], v[102:103], v[60:61]
	v_pk_fma_f32 v[100:101], v[54:55], s[20:21], v[98:99] neg_lo:[1,0,0] neg_hi:[1,0,0]
	v_pk_fma_f32 v[102:103], v[108:109], s[20:21], v[98:99]
	v_pk_add_f32 v[84:85], v[124:125], v[84:85]
	v_mov_b32_e32 v101, v103
	v_pk_add_f32 v[90:91], v[100:101], v[90:91]
	v_pk_mul_f32 v[100:101], v[94:95], s[34:35]
	v_pk_mul_f32 v[94:95], v[94:95], s[24:25]
	v_pk_fma_f32 v[120:121], v[54:55], s[22:23], v[100:101] neg_lo:[1,0,0] neg_hi:[1,0,0]
	v_pk_fma_f32 v[124:125], v[108:109], s[22:23], v[100:101]
	v_pk_fma_f32 v[54:55], v[54:55], s[6:7], v[94:95] neg_lo:[1,0,0] neg_hi:[1,0,0]
	v_mov_b32_e32 v121, v125
	v_pk_add_f32 v[92:93], v[120:121], v[92:93]
	v_pk_fma_f32 v[120:121], v[108:109], s[6:7], v[94:95]
	v_pk_add_f32 v[60:61], v[126:127], v[60:61]
	v_mov_b32_e32 v55, v121
	v_pk_add_f32 v[54:55], v[54:55], v[72:73]
	v_pk_add_f32 v[72:73], v[110:111], v[52:53]
	v_pk_add_f32 v[52:53], v[110:111], v[52:53] neg_lo:[0,1] neg_hi:[0,1]
	v_pk_fma_f32 v[86:87], v[36:37], s[0:1], v[86:87] neg_lo:[0,0,1] neg_hi:[0,0,1]
	v_mov_b32_e32 v73, v52
	v_pk_add_f32 v[52:53], v[82:83], v[56:57] op_sel:[1,0] neg_lo:[0,1] neg_hi:[0,1]
	v_pk_add_f32 v[82:83], v[82:83], v[56:57] op_sel_hi:[1,0]
	v_pk_mul_f32 v[56:57], v[72:73], s[24:25]
	v_mov_b32_e32 v82, v52
	v_pk_fma_f32 v[110:111], v[52:53], s[6:7], v[56:57] neg_lo:[1,0,0] neg_hi:[1,0,0]
	v_pk_fma_f32 v[126:127], v[82:83], s[6:7], v[56:57]
	v_mov_b32_e32 v89, v87
	v_mov_b32_e32 v111, v127
	v_pk_add_f32 v[80:81], v[110:111], v[80:81]
	v_pk_mul_f32 v[110:111], v[72:73], s[44:45]
	v_pk_add_f32 v[86:87], v[42:43], v[88:89]
	v_pk_fma_f32 v[128:129], v[52:53], s[28:29], v[110:111] neg_lo:[1,0,0] neg_hi:[1,0,0]
	v_pk_fma_f32 v[130:131], v[82:83], s[28:29], v[110:111]
	v_pk_fma_f32 v[88:89], v[70:71], s[38:39], v[104:105] neg_lo:[0,0,1] neg_hi:[0,0,1]
	v_mov_b32_e32 v129, v131
	v_pk_add_f32 v[84:85], v[128:129], v[84:85]
	v_pk_mul_f32 v[128:129], v[72:73], s[34:35]
	v_mov_b32_e32 v113, v89
	v_pk_fma_f32 v[88:89], v[108:109], s[20:21], v[98:99] neg_lo:[0,0,1] neg_hi:[0,0,1]
	v_pk_fma_f32 v[132:133], v[52:53], s[22:23], v[128:129] neg_lo:[1,0,0] neg_hi:[1,0,0]
	v_pk_fma_f32 v[134:135], v[82:83], s[22:23], v[128:129]
	v_mov_b32_e32 v103, v89
	v_pk_fma_f32 v[88:89], v[82:83], s[22:23], v[128:129] neg_lo:[0,0,1] neg_hi:[0,0,1]
	v_mov_b32_e32 v133, v135
	v_pk_add_f32 v[86:87], v[112:113], v[86:87]
	v_mov_b32_e32 v135, v89
	v_pk_mul_f32 v[88:89], v[72:73], s[30:31]
	v_pk_add_f32 v[86:87], v[102:103], v[86:87]
	v_pk_fma_f32 v[98:99], v[52:53], s[18:19], v[88:89] neg_lo:[1,0,0] neg_hi:[1,0,0]
	v_pk_fma_f32 v[102:103], v[82:83], s[18:19], v[88:89]
	v_pk_mul_f32 v[72:73], v[72:73], s[40:41]
	v_mov_b32_e32 v99, v103
	v_pk_add_f32 v[92:93], v[98:99], v[92:93]
	v_pk_fma_f32 v[52:53], v[52:53], s[20:21], v[72:73] neg_lo:[1,0,0] neg_hi:[1,0,0]
	v_pk_fma_f32 v[98:99], v[82:83], s[20:21], v[72:73]
	v_pk_add_f32 v[112:113], v[48:49], v[50:51]
	v_mov_b32_e32 v53, v99
	v_pk_add_f32 v[104:105], v[52:53], v[54:55]
	v_pk_add_f32 v[52:53], v[48:49], v[50:51] neg_lo:[0,1] neg_hi:[0,1]
	v_pk_add_f32 v[90:91], v[132:133], v[90:91]
	v_mov_b32_e32 v113, v52
	v_pk_add_f32 v[128:129], v[46:47], v[46:47] op_sel:[0,1] neg_lo:[0,1] neg_hi:[0,1]
	v_pk_add_f32 v[132:133], v[46:47], v[46:47] op_sel_hi:[0,1]
	v_mov_b32_e32 v132, v128
	v_pk_mul_f32 v[46:47], v[112:113], s[36:37]
	v_pk_fma_f32 v[118:119], v[108:109], s[0:1], v[118:119] neg_lo:[0,0,1] neg_hi:[0,0,1]
	v_pk_fma_f32 v[48:49], v[128:129], s[26:27], v[46:47] neg_lo:[1,0,0] neg_hi:[1,0,0]
	v_pk_fma_f32 v[54:55], v[132:133], s[26:27], v[46:47]
	v_pk_add_f32 v[86:87], v[134:135], v[86:87]
	v_mov_b32_e32 v49, v55
	v_pk_add_f32 v[48:49], v[48:49], v[84:85]
	v_pk_fma_f32 v[84:85], v[132:133], s[26:27], v[46:47] neg_lo:[0,0,1] neg_hi:[0,0,1]
	v_pk_mul_f32 v[46:47], v[112:113], s[24:25]
	v_pk_fma_f32 v[56:57], v[82:83], s[6:7], v[56:57] neg_lo:[0,0,1] neg_hi:[0,0,1]
	v_pk_fma_f32 v[50:51], v[128:129], s[6:7], v[46:47] neg_lo:[1,0,0] neg_hi:[1,0,0]
	v_pk_fma_f32 v[134:135], v[132:133], s[6:7], v[46:47]
	v_mov_b32_e32 v123, v119
	v_mov_b32_e32 v51, v135
	v_pk_add_f32 v[50:51], v[50:51], v[90:91]
	v_pk_fma_f32 v[90:91], v[132:133], s[6:7], v[46:47] neg_lo:[0,0,1] neg_hi:[0,0,1]
	v_pk_add_f32 v[46:47], v[122:123], v[76:77]
	v_mov_b32_e32 v127, v57
	v_mov_b32_e32 v76, v128
	;; [unrolled: 1-line block ×3, first 2 shown]
	v_pk_fma_f32 v[62:63], v[36:37], s[6:7], v[62:63] neg_lo:[0,0,1] neg_hi:[0,0,1]
	v_pk_add_f32 v[56:57], v[126:127], v[46:47]
	v_mov_b32_e32 v46, v112
	v_mov_b32_e32 v47, v133
	s_mov_b32 s24, s19
	v_pk_mul_f32 v[52:53], v[76:77], s[18:19] op_sel_hi:[1,0]
	v_mov_b32_e32 v59, v63
	v_pk_fma_f32 v[62:63], v[70:71], s[28:29], v[106:107] neg_lo:[0,0,1] neg_hi:[0,0,1]
	v_pk_fma_f32 v[36:37], v[36:37], s[18:19], v[64:65] neg_lo:[0,0,1] neg_hi:[0,0,1]
	v_pk_fma_f32 v[76:77], v[46:47], s[24:25], v[52:53] op_sel_hi:[1,0,1] neg_lo:[0,0,1] neg_hi:[0,0,1]
	v_pk_fma_f32 v[52:53], v[46:47], s[24:25], v[52:53] op_sel_hi:[1,0,1]
	v_pk_add_f32 v[58:59], v[42:43], v[58:59]
	v_mov_b32_e32 v117, v63
	v_pk_fma_f32 v[62:63], v[108:109], s[22:23], v[100:101] neg_lo:[0,0,1] neg_hi:[0,0,1]
	v_mov_b32_e32 v45, v37
	v_mov_b32_e32 v46, v76
	;; [unrolled: 1-line block ×4, first 2 shown]
	v_pk_mul_f32 v[76:77], v[112:113], s[40:41]
	v_pk_add_f32 v[58:59], v[116:117], v[58:59]
	v_mov_b32_e32 v125, v63
	v_pk_fma_f32 v[62:63], v[82:83], s[18:19], v[88:89] neg_lo:[0,0,1] neg_hi:[0,0,1]
	v_pk_add_f32 v[36:37], v[42:43], v[44:45]
	v_pk_fma_f32 v[42:43], v[70:71], s[26:27], v[96:97] neg_lo:[0,0,1] neg_hi:[0,0,1]
	v_pk_add_f32 v[46:47], v[46:47], v[80:81]
	v_pk_add_f32 v[56:57], v[52:53], v[56:57]
	v_pk_fma_f32 v[52:53], v[128:129], s[20:21], v[76:77] neg_lo:[1,0,0] neg_hi:[1,0,0]
	v_pk_fma_f32 v[80:81], v[132:133], s[20:21], v[76:77]
	v_pk_add_f32 v[58:59], v[124:125], v[58:59]
	v_mov_b32_e32 v103, v63
	v_pk_fma_f32 v[62:63], v[132:133], s[20:21], v[76:77] neg_lo:[0,0,1] neg_hi:[0,0,1]
	v_mov_b32_e32 v115, v43
	v_pk_fma_f32 v[42:43], v[108:109], s[6:7], v[94:95] neg_lo:[0,0,1] neg_hi:[0,0,1]
	v_mov_b32_e32 v53, v81
	v_pk_add_f32 v[58:59], v[102:103], v[58:59]
	v_mov_b32_e32 v81, v63
	v_pk_mul_f32 v[76:77], v[112:113], s[16:17]
	v_pk_add_f32 v[36:37], v[114:115], v[36:37]
	v_mov_b32_e32 v121, v43
	v_pk_fma_f32 v[42:43], v[82:83], s[20:21], v[72:73] neg_lo:[0,0,1] neg_hi:[0,0,1]
	v_pk_add_f32 v[58:59], v[80:81], v[58:59]
	v_pk_fma_f32 v[62:63], v[128:129], s[0:1], v[76:77] neg_lo:[1,0,0] neg_hi:[1,0,0]
	v_pk_fma_f32 v[80:81], v[132:133], s[0:1], v[76:77]
	v_pk_add_f32 v[36:37], v[120:121], v[36:37]
	v_mov_b32_e32 v99, v43
	v_pk_fma_f32 v[42:43], v[132:133], s[0:1], v[76:77] neg_lo:[0,0,1] neg_hi:[0,0,1]
	v_pk_fma_f32 v[110:111], v[82:83], s[28:29], v[110:111] neg_lo:[0,0,1] neg_hi:[0,0,1]
	v_mov_b32_e32 v63, v81
	v_pk_add_f32 v[36:37], v[98:99], v[36:37]
	v_mov_b32_e32 v81, v43
	v_mov_b32_e32 v131, v111
	v_pk_add_f32 v[64:65], v[80:81], v[36:37]
	v_accvgpr_read_b32 v36, a1
	v_pk_add_f32 v[60:61], v[130:131], v[60:61]
	v_mov_b32_e32 v55, v85
	v_mov_b32_e32 v135, v91
	v_lshl_add_u32 v230, v212, 3, v36
	v_pk_add_f32 v[54:55], v[54:55], v[60:61]
	v_pk_add_f32 v[60:61], v[134:135], v[86:87]
	v_pk_add_f32 v[52:53], v[52:53], v[92:93]
	v_pk_add_f32 v[62:63], v[62:63], v[104:105]
	v_add_u32_e32 v37, 0x400, v230
	v_add_u32_e32 v36, 0x800, v230
	ds_write_b64 v230, v[78:79]
	ds_write2_b64 v230, v[46:47], v[48:49] offset0:51 offset1:102
	ds_write2_b64 v230, v[50:51], v[52:53] offset0:153 offset1:204
	;; [unrolled: 1-line block ×5, first 2 shown]
	s_waitcnt lgkmcnt(0)
	s_barrier
	s_and_saveexec_b64 s[0:1], s[4:5]
	s_cbranch_execz .LBB0_13
; %bb.12:
	v_mov_b32_e32 v67, 0
	v_lshl_add_u64 v[42:43], s[12:13], 0, v[66:67]
	v_add_co_u32_e32 v44, vcc, 0x1000, v42
	s_mov_b64 s[6:7], 0x1188
	s_nop 0
	v_addc_co_u32_e32 v45, vcc, 0, v43, vcc
	global_load_dwordx2 v[44:45], v[44:45], off offset:392
	v_lshl_add_u64 v[70:71], v[42:43], 0, s[6:7]
	global_load_dwordx2 v[76:77], v[70:71], off offset:264
	global_load_dwordx2 v[100:101], v[70:71], off offset:528
	;; [unrolled: 1-line block ×14, first 2 shown]
	v_add_co_u32_e32 v42, vcc, 0x2000, v42
	global_load_dwordx2 v[126:127], v[70:71], off offset:3960
	s_nop 0
	v_addc_co_u32_e32 v43, vcc, 0, v43, vcc
	global_load_dwordx2 v[128:129], v[42:43], off offset:520
	ds_read_b64 v[72:73], v230
	s_waitcnt vmcnt(16) lgkmcnt(0)
	v_mul_f32_e32 v42, v73, v45
	v_mul_f32_e32 v43, v72, v45
	v_fma_f32 v42, v72, v44, -v42
	v_fmac_f32_e32 v43, v73, v44
	ds_write_b64 v230, v[42:43]
	ds_read2_b64 v[42:45], v230 offset0:33 offset1:66
	ds_read2_b64 v[70:73], v230 offset0:99 offset1:132
	;; [unrolled: 1-line block ×7, first 2 shown]
	s_waitcnt vmcnt(15) lgkmcnt(6)
	v_mul_f32_e32 v67, v43, v77
	v_mul_f32_e32 v131, v42, v77
	s_waitcnt vmcnt(14)
	v_mul_f32_e32 v75, v45, v101
	v_mul_f32_e32 v77, v44, v101
	s_waitcnt vmcnt(13) lgkmcnt(5)
	v_mul_f32_e32 v132, v71, v103
	v_mul_f32_e32 v101, v70, v103
	s_waitcnt vmcnt(12)
	v_mul_f32_e32 v133, v73, v105
	v_mul_f32_e32 v103, v72, v105
	;; [unrolled: 6-line block ×5, first 2 shown]
	s_waitcnt vmcnt(5) lgkmcnt(1)
	v_mul_f32_e32 v140, v93, v119
	v_mul_f32_e32 v117, v92, v119
	s_waitcnt vmcnt(4)
	v_mul_f32_e32 v119, v95, v121
	v_fma_f32 v130, v42, v76, -v67
	v_fmac_f32_e32 v131, v43, v76
	v_fma_f32 v76, v44, v100, -v75
	v_fmac_f32_e32 v77, v45, v100
	v_mul_f32_e32 v43, v94, v121
	v_fma_f32 v100, v70, v102, -v132
	v_fmac_f32_e32 v101, v71, v102
	v_fma_f32 v102, v72, v104, -v133
	v_fmac_f32_e32 v103, v73, v104
	;; [unrolled: 2-line block ×9, first 2 shown]
	ds_write2_b64 v230, v[130:131], v[76:77] offset0:33 offset1:66
	ds_write2_b64 v230, v[100:101], v[102:103] offset0:99 offset1:132
	;; [unrolled: 1-line block ×5, first 2 shown]
	v_fma_f32 v42, v94, v120, -v119
	v_fmac_f32_e32 v43, v95, v120
	v_add_u32_e32 v67, 0xc00, v230
	ds_write2_b64 v36, v[116:117], v[42:43] offset0:107 offset1:140
	ds_read2_b64 v[42:45], v67 offset0:111 offset1:144
	s_waitcnt vmcnt(3) lgkmcnt(7)
	v_mul_f32_e32 v37, v97, v123
	v_fma_f32 v70, v96, v122, -v37
	v_mul_f32_e32 v71, v96, v123
	s_waitcnt vmcnt(2)
	v_mul_f32_e32 v37, v99, v125
	v_mul_f32_e32 v73, v98, v125
	v_fmac_f32_e32 v71, v97, v122
	v_fma_f32 v72, v98, v124, -v37
	v_fmac_f32_e32 v73, v99, v124
	ds_write2_b64 v36, v[70:71], v[72:73] offset0:173 offset1:206
	s_waitcnt vmcnt(1) lgkmcnt(1)
	v_mul_f32_e32 v36, v43, v127
	v_mul_f32_e32 v37, v42, v127
	v_fma_f32 v36, v42, v126, -v36
	v_fmac_f32_e32 v37, v43, v126
	s_waitcnt vmcnt(0)
	v_mul_f32_e32 v42, v45, v129
	v_mul_f32_e32 v43, v44, v129
	v_fma_f32 v42, v44, v128, -v42
	v_fmac_f32_e32 v43, v45, v128
	ds_write2_b64 v67, v[36:37], v[42:43] offset0:111 offset1:144
.LBB0_13:
	s_or_b64 exec, exec, s[0:1]
	s_waitcnt lgkmcnt(0)
	s_barrier
	s_and_saveexec_b64 s[0:1], s[4:5]
	s_cbranch_execz .LBB0_15
; %bb.14:
	ds_read_b64 v[78:79], v230
	ds_read2_b64 v[46:49], v230 offset0:33 offset1:66
	ds_read2_b64 v[50:53], v230 offset0:99 offset1:132
	;; [unrolled: 1-line block ×3, first 2 shown]
	v_add_u32_e32 v40, 0x400, v230
	v_add_u32_e32 v36, 0xc00, v230
	;; [unrolled: 1-line block ×3, first 2 shown]
	ds_read2_b64 v[36:39], v36 offset0:111 offset1:144
	ds_read2_b64 v[70:73], v44 offset0:173 offset1:206
	;; [unrolled: 1-line block ×5, first 2 shown]
	s_waitcnt lgkmcnt(4)
	v_mov_b64_e32 v[218:219], v[36:37]
	s_waitcnt lgkmcnt(3)
	v_mov_b64_e32 v[220:221], v[72:73]
	v_mov_b64_e32 v[222:223], v[70:71]
	s_waitcnt lgkmcnt(1)
	v_mov_b64_e32 v[224:225], v[42:43]
.LBB0_15:
	s_or_b64 exec, exec, s[0:1]
	v_pk_add_f32 v[42:43], v[50:51], v[220:221] neg_lo:[0,1] neg_hi:[0,1]
	v_pk_add_f32 v[126:127], v[50:51], v[220:221]
	v_mov_b32_e32 v83, v42
	v_mov_b32_e32 v82, v126
	v_mov_b32_e32 v126, v43
	v_pk_add_f32 v[42:43], v[52:53], v[222:223] neg_lo:[0,1] neg_hi:[0,1]
	v_pk_add_f32 v[124:125], v[52:53], v[222:223]
	v_mov_b32_e32 v85, v42
	v_mov_b32_e32 v84, v124
	v_mov_b32_e32 v124, v43
	v_pk_add_f32 v[42:43], v[62:63], v[224:225] neg_lo:[0,1] neg_hi:[0,1]
	v_pk_add_f32 v[122:123], v[62:63], v[224:225]
	v_mov_b32_e32 v87, v42
	v_mov_b32_e32 v86, v122
	v_mov_b32_e32 v122, v43
	v_pk_add_f32 v[42:43], v[64:65], v[40:41] neg_lo:[0,1] neg_hi:[0,1]
	v_pk_add_f32 v[120:121], v[64:65], v[40:41]
	v_mov_b32_e32 v89, v42
	v_mov_b32_e32 v88, v120
	v_mov_b32_e32 v120, v43
	s_waitcnt lgkmcnt(0)
	v_pk_add_f32 v[42:43], v[58:59], v[56:57] neg_lo:[0,1] neg_hi:[0,1]
	v_pk_add_f32 v[118:119], v[58:59], v[56:57]
	v_pk_add_f32 v[108:109], v[38:39], v[46:47]
	v_pk_add_f32 v[110:111], v[46:47], v[38:39] neg_lo:[0,1] neg_hi:[0,1]
	v_mov_b32_e32 v90, v118
	v_mov_b32_e32 v91, v42
	;; [unrolled: 1-line block ×3, first 2 shown]
	v_pk_add_f32 v[42:43], v[60:61], v[54:55] neg_lo:[0,1] neg_hi:[0,1]
	v_pk_add_f32 v[116:117], v[60:61], v[54:55]
	s_mov_b32 s46, 0xbf4c4adb
	v_pk_add_f32 v[36:37], v[48:49], v[218:219] neg_lo:[0,1] neg_hi:[0,1]
	v_pk_add_f32 v[106:107], v[48:49], v[218:219]
	v_mov_b32_e32 v92, v116
	v_mov_b32_e32 v93, v42
	;; [unrolled: 1-line block ×5, first 2 shown]
	s_mov_b32 s47, 0xbf1a4643
	s_mov_b32 s54, 0x3f763a35
	v_mov_b32_e32 v80, v106
	v_mov_b32_e32 v106, v37
	s_mov_b32 s48, 0x3eb8f4ab
	v_pk_mul_f32 v[114:115], v[42:43], s[46:47]
	v_mov_b32_e32 v104, v108
	v_mov_b32_e32 v105, v110
	s_mov_b32 s6, s47
	s_mov_b32 s7, s46
	;; [unrolled: 1-line block ×3, first 2 shown]
	v_mov_b32_e32 v81, v36
	s_mov_b32 s49, 0x3f6eb680
	v_pk_fma_f32 v[44:45], v[104:105], s[6:7], v[114:115] neg_lo:[0,0,1] neg_hi:[0,0,1]
	v_pk_fma_f32 v[112:113], v[104:105], s[6:7], v[114:115]
	v_pk_mul_f32 v[128:129], v[106:107], s[54:55]
	s_mov_b32 s18, s55
	s_mov_b32 s19, s54
	v_mov_b32_e32 v45, v113
	v_pk_fma_f32 v[70:71], v[80:81], s[18:19], v[128:129] neg_lo:[0,0,1] neg_hi:[0,0,1]
	v_pk_fma_f32 v[130:131], v[80:81], s[18:19], v[128:129]
	s_mov_b32 s50, 0xbeb8f4ab
	s_mov_b32 s51, s49
	v_pk_add_f32 v[44:45], v[78:79], v[44:45]
	v_mov_b32_e32 v71, v131
	v_pk_mul_f32 v[132:133], v[126:127], s[50:51]
	s_mov_b32 s24, s49
	s_mov_b32 s25, s50
	s_mov_b32 s58, 0xbf06c442
	v_pk_add_f32 v[44:45], v[70:71], v[44:45]
	v_pk_fma_f32 v[70:71], v[82:83], s[24:25], v[132:133] neg_lo:[0,0,1] neg_hi:[0,0,1]
	v_pk_fma_f32 v[134:135], v[82:83], s[24:25], v[132:133]
	s_mov_b32 s59, 0xbf59a7d5
	v_mov_b32_e32 v71, v135
	v_pk_mul_f32 v[136:137], v[124:125], s[58:59]
	s_mov_b32 s16, s59
	s_mov_b32 s17, s58
	s_mov_b32 s56, 0x3f7ee86f
	v_pk_add_f32 v[44:45], v[70:71], v[44:45]
	v_pk_fma_f32 v[70:71], v[84:85], s[16:17], v[136:137] neg_lo:[0,0,1] neg_hi:[0,0,1]
	v_pk_fma_f32 v[138:139], v[84:85], s[16:17], v[136:137]
	s_mov_b32 s57, 0x3dbcf732
	;; [unrolled: 9-line block ×3, first 2 shown]
	s_mov_b32 s44, 0xbe3c28d5
	v_mov_b32_e32 v71, v151
	v_pk_mul_f32 v[166:167], v[120:121], s[52:53]
	s_mov_b32 s22, s53
	s_mov_b32 s23, s52
	;; [unrolled: 1-line block ×3, first 2 shown]
	v_pk_add_f32 v[44:45], v[70:71], v[44:45]
	v_pk_fma_f32 v[70:71], v[88:89], s[22:23], v[166:167] neg_lo:[0,0,1] neg_hi:[0,0,1]
	v_pk_fma_f32 v[170:171], v[88:89], s[22:23], v[166:167]
	v_pk_mul_f32 v[176:177], v[118:119], s[44:45]
	v_mov_b32_e32 v71, v171
	s_mov_b32 s20, s45
	s_mov_b32 s21, s44
	;; [unrolled: 1-line block ×3, first 2 shown]
	v_pk_add_f32 v[44:45], v[70:71], v[44:45]
	v_pk_fma_f32 v[70:71], v[90:91], s[20:21], v[176:177] neg_lo:[0,0,1] neg_hi:[0,0,1]
	v_pk_fma_f32 v[186:187], v[90:91], s[20:21], v[176:177]
	s_mov_b32 s61, 0x3ee437d1
	v_mov_b32_e32 v71, v187
	v_pk_mul_f32 v[204:205], v[116:117], s[60:61]
	s_mov_b32 s28, s61
	s_mov_b32 s29, s60
	v_pk_add_f32 v[44:45], v[70:71], v[44:45]
	v_pk_fma_f32 v[70:71], v[92:93], s[28:29], v[204:205] neg_lo:[0,0,1] neg_hi:[0,0,1]
	v_pk_fma_f32 v[198:199], v[92:93], s[28:29], v[204:205]
	v_pk_mul_f32 v[190:191], v[42:43], s[58:59]
	v_mov_b32_e32 v71, v199
	v_pk_fma_f32 v[42:43], v[104:105], s[16:17], v[190:191] neg_lo:[0,0,1] neg_hi:[0,0,1]
	v_pk_fma_f32 v[148:149], v[104:105], s[16:17], v[190:191]
	v_pk_mul_f32 v[178:179], v[106:107], s[60:61]
	v_pk_add_f32 v[44:45], v[70:71], v[44:45]
	v_mov_b32_e32 v43, v149
	v_pk_fma_f32 v[70:71], v[80:81], s[28:29], v[178:179] neg_lo:[0,0,1] neg_hi:[0,0,1]
	v_pk_fma_f32 v[162:163], v[80:81], s[28:29], v[178:179]
	s_mov_b32 s68, 0xbf7ee86f
	s_mov_b32 s69, s57
	v_pk_add_f32 v[42:43], v[78:79], v[42:43]
	v_mov_b32_e32 v71, v163
	v_pk_mul_f32 v[168:169], v[126:127], s[68:69]
	s_mov_b32 s26, s57
	s_mov_b32 s27, s68
	v_pk_add_f32 v[42:43], v[70:71], v[42:43]
	v_pk_fma_f32 v[70:71], v[82:83], s[26:27], v[168:169] neg_lo:[0,0,1] neg_hi:[0,0,1]
	v_pk_fma_f32 v[156:157], v[82:83], s[26:27], v[168:169]
	s_mov_b32 s64, 0x3f4c4adb
	s_mov_b32 s65, s47
	v_mov_b32_e32 v71, v157
	v_pk_mul_f32 v[164:165], v[124:125], s[64:65]
	s_mov_b32 s40, s47
	s_mov_b32 s41, s64
	v_pk_add_f32 v[42:43], v[70:71], v[42:43]
	v_pk_fma_f32 v[70:71], v[84:85], s[40:41], v[164:165] neg_lo:[0,0,1] neg_hi:[0,0,1]
	v_pk_fma_f32 v[154:155], v[84:85], s[40:41], v[164:165]
	v_pk_mul_f32 v[152:153], v[122:123], s[50:51]
	v_mov_b32_e32 v71, v155
	v_pk_add_f32 v[42:43], v[70:71], v[42:43]
	v_pk_fma_f32 v[70:71], v[86:87], s[24:25], v[152:153] neg_lo:[0,0,1] neg_hi:[0,0,1]
	v_pk_fma_f32 v[142:143], v[86:87], s[24:25], v[152:153]
	v_pk_mul_f32 v[146:147], v[120:121], s[44:45]
	v_mov_b32_e32 v71, v143
	v_pk_add_f32 v[42:43], v[70:71], v[42:43]
	v_pk_fma_f32 v[70:71], v[88:89], s[20:21], v[146:147] neg_lo:[0,0,1] neg_hi:[0,0,1]
	v_pk_fma_f32 v[140:141], v[88:89], s[20:21], v[146:147]
	s_mov_b32 s62, 0x3f2c7751
	s_mov_b32 s63, s53
	v_mov_b32_e32 v71, v141
	v_pk_mul_f32 v[158:159], v[118:119], s[62:63]
	s_mov_b32 s38, s53
	s_mov_b32 s39, s62
	v_pk_add_f32 v[42:43], v[70:71], v[42:43]
	v_pk_fma_f32 v[70:71], v[90:91], s[38:39], v[158:159] neg_lo:[0,0,1] neg_hi:[0,0,1]
	v_pk_fma_f32 v[160:161], v[90:91], s[38:39], v[158:159]
	s_mov_b32 s66, 0xbf763a35
	s_mov_b32 s67, s55
	v_mov_b32_e32 v71, v161
	v_pk_mul_f32 v[172:173], v[116:117], s[66:67]
	s_mov_b32 s30, s55
	s_mov_b32 s31, s66
	;; [unrolled: 1-line block ×3, first 2 shown]
	v_pk_mul_f32 v[36:37], v[110:111], s[44:45] op_sel_hi:[1,0]
	v_pk_add_f32 v[42:43], v[70:71], v[42:43]
	v_pk_fma_f32 v[70:71], v[92:93], s[30:31], v[172:173] neg_lo:[0,0,1] neg_hi:[0,0,1]
	v_pk_fma_f32 v[182:183], v[92:93], s[30:31], v[172:173]
	v_pk_fma_f32 v[72:73], v[108:109], s[0:1], v[36:37] op_sel:[0,0,1] op_sel_hi:[1,0,0] neg_lo:[0,0,1] neg_hi:[0,0,1]
	v_pk_fma_f32 v[96:97], v[108:109], s[0:1], v[36:37] op_sel:[0,0,1] op_sel_hi:[1,0,0]
	v_pk_mul_f32 v[228:229], v[106:107], s[48:49]
	s_mov_b32 s0, s49
	s_mov_b32 s1, s48
	v_mov_b32_e32 v71, v183
	v_pk_fma_f32 v[36:37], v[80:81], s[0:1], v[228:229] neg_lo:[0,0,1] neg_hi:[0,0,1]
	v_pk_fma_f32 v[98:99], v[80:81], s[0:1], v[228:229]
	v_pk_add_f32 v[42:43], v[70:71], v[42:43]
	v_mov_b32_e32 v70, v72
	v_mov_b32_e32 v71, v97
	v_pk_add_f32 v[70:71], v[78:79], v[70:71]
	v_mov_b32_e32 v37, v99
	v_pk_mul_f32 v[180:181], v[126:127], s[58:59]
	v_pk_add_f32 v[36:37], v[36:37], v[70:71]
	v_pk_fma_f32 v[70:71], v[82:83], s[16:17], v[180:181] neg_lo:[0,0,1] neg_hi:[0,0,1]
	v_pk_fma_f32 v[174:175], v[82:83], s[16:17], v[180:181]
	v_pk_mul_f32 v[188:189], v[124:125], s[62:63]
	v_mov_b32_e32 v71, v175
	v_pk_add_f32 v[36:37], v[70:71], v[36:37]
	v_pk_fma_f32 v[70:71], v[84:85], s[38:39], v[188:189] neg_lo:[0,0,1] neg_hi:[0,0,1]
	v_pk_fma_f32 v[184:185], v[84:85], s[38:39], v[188:189]
	v_pk_mul_f32 v[194:195], v[122:123], s[46:47]
	v_mov_b32_e32 v71, v185
	v_pk_add_f32 v[36:37], v[70:71], v[36:37]
	v_pk_fma_f32 v[70:71], v[86:87], s[6:7], v[194:195] neg_lo:[0,0,1] neg_hi:[0,0,1]
	v_pk_fma_f32 v[192:193], v[86:87], s[6:7], v[194:195]
	v_pk_mul_f32 v[200:201], v[120:121], s[60:61]
	v_mov_b32_e32 v71, v193
	v_pk_add_f32 v[36:37], v[70:71], v[36:37]
	v_pk_fma_f32 v[70:71], v[88:89], s[28:29], v[200:201] neg_lo:[0,0,1] neg_hi:[0,0,1]
	v_pk_fma_f32 v[196:197], v[88:89], s[28:29], v[200:201]
	v_pk_mul_f32 v[206:207], v[118:119], s[66:67]
	v_mov_b32_e32 v71, v197
	v_pk_add_f32 v[36:37], v[70:71], v[36:37]
	v_pk_fma_f32 v[70:71], v[90:91], s[30:31], v[206:207] neg_lo:[0,0,1] neg_hi:[0,0,1]
	v_pk_fma_f32 v[202:203], v[90:91], s[30:31], v[206:207]
	v_pk_mul_f32 v[210:211], v[116:117], s[56:57]
	v_mov_b32_e32 v71, v203
	v_pk_add_f32 v[36:37], v[70:71], v[36:37]
	v_pk_fma_f32 v[70:71], v[92:93], s[36:37], v[210:211] neg_lo:[0,0,1] neg_hi:[0,0,1]
	v_pk_fma_f32 v[208:209], v[92:93], s[36:37], v[210:211]
	s_nop 0
	v_mov_b32_e32 v71, v209
	v_pk_add_f32 v[94:95], v[70:71], v[36:37]
	s_barrier
	s_and_saveexec_b64 s[34:35], s[4:5]
	s_cbranch_execz .LBB0_17
; %bb.16:
	v_pk_add_f32 v[46:47], v[46:47], v[78:79]
	s_mov_b32 s42, s49
	v_pk_add_f32 v[46:47], v[48:49], v[46:47]
	v_pk_mul_f32 v[36:37], v[110:111], s[50:51] op_sel_hi:[1,0]
	v_pk_add_f32 v[46:47], v[50:51], v[46:47]
	v_accvgpr_read_b32 v48, a1
	v_pk_add_f32 v[46:47], v[52:53], v[46:47]
	v_pk_mul_f32 v[50:51], v[106:107], s[52:53]
	v_pk_add_f32 v[46:47], v[62:63], v[46:47]
	v_lshl_add_u32 v67, v74, 3, v48
	v_pk_add_f32 v[46:47], v[64:65], v[46:47]
	v_pk_fma_f32 v[48:49], v[80:81], s[22:23], v[50:51]
	v_pk_add_f32 v[46:47], v[58:59], v[46:47]
	v_accvgpr_write_b32 a8, v50
	v_pk_add_f32 v[46:47], v[60:61], v[46:47]
	s_mov_b32 s71, s61
	v_pk_add_f32 v[46:47], v[54:55], v[46:47]
	v_accvgpr_write_b32 a9, v51
	v_pk_add_f32 v[46:47], v[56:57], v[46:47]
	v_accvgpr_write_b32 a7, v49
	v_pk_add_f32 v[40:41], v[40:41], v[46:47]
	v_pk_fma_f32 v[46:47], v[108:109], s[42:43], v[36:37] op_sel:[0,0,1] op_sel_hi:[1,0,0]
	v_pk_add_f32 v[40:41], v[224:225], v[40:41]
	v_accvgpr_write_b32 a5, v47
	v_pk_add_f32 v[40:41], v[222:223], v[40:41]
	s_mov_b32 s72, s53
	v_pk_add_f32 v[40:41], v[220:221], v[40:41]
	v_accvgpr_write_b32 a2, v214
	v_pk_add_f32 v[40:41], v[218:219], v[40:41]
	v_accvgpr_write_b32 a3, v215
	v_pk_add_f32 v[40:41], v[38:39], v[40:41]
	v_pk_fma_f32 v[38:39], v[108:109], s[42:43], v[36:37] op_sel:[0,0,1] op_sel_hi:[1,0,0] neg_lo:[0,0,1] neg_hi:[0,0,1]
	s_mov_b32 s43, 0xbf65296c
	v_mov_b32_e32 v36, v46
	v_mov_b32_e32 v37, v39
	v_pk_fma_f32 v[46:47], v[80:81], s[22:23], v[50:51] neg_lo:[1,0,0] neg_hi:[1,0,0]
	s_mov_b32 s70, s43
	v_pk_add_f32 v[36:37], v[78:79], v[36:37]
	v_mov_b32_e32 v46, v48
	s_mov_b32 s42, s61
	v_pk_mul_f32 v[50:51], v[126:127], s[70:71]
	v_pk_add_f32 v[36:37], v[46:47], v[36:37]
	v_pk_fma_f32 v[48:49], v[82:83], s[42:43], v[50:51]
	v_pk_fma_f32 v[46:47], v[82:83], s[42:43], v[50:51] neg_lo:[1,0,0] neg_hi:[1,0,0]
	v_accvgpr_write_b32 a14, v50
	v_accvgpr_write_b32 a15, v51
	v_mov_b32_e32 v46, v48
	v_pk_mul_f32 v[50:51], v[124:125], s[68:69]
	v_accvgpr_write_b32 a11, v49
	v_pk_add_f32 v[36:37], v[46:47], v[36:37]
	v_pk_fma_f32 v[48:49], v[84:85], s[26:27], v[50:51]
	v_pk_fma_f32 v[46:47], v[84:85], s[26:27], v[50:51] neg_lo:[1,0,0] neg_hi:[1,0,0]
	v_accvgpr_write_b32 a18, v50
	v_accvgpr_write_b32 a19, v51
	v_mov_b32_e32 v46, v48
	v_pk_mul_f32 v[50:51], v[122:123], s[66:67]
	v_accvgpr_write_b32 a13, v49
	;; [unrolled: 8-line block ×5, first 2 shown]
	v_pk_add_f32 v[36:37], v[46:47], v[36:37]
	v_pk_fma_f32 v[48:49], v[92:93], s[20:21], v[50:51]
	v_pk_fma_f32 v[46:47], v[92:93], s[20:21], v[50:51] neg_lo:[1,0,0] neg_hi:[1,0,0]
	v_accvgpr_write_b32 a29, v49
	v_mov_b32_e32 v46, v48
	v_pk_add_f32 v[36:37], v[46:47], v[36:37]
	ds_write2_b64 v67, v[40:41], v[36:37] offset1:1
	v_pk_mul_f32 v[36:37], v[110:111], s[52:53] op_sel_hi:[1,0]
	v_pk_mul_f32 v[48:49], v[106:107], s[68:69]
	v_pk_fma_f32 v[40:41], v[108:109], s[72:73], v[36:37] op_sel:[0,0,1] op_sel_hi:[1,0,0]
	v_pk_fma_f32 v[214:215], v[108:109], s[72:73], v[36:37] op_sel:[0,0,1] op_sel_hi:[1,0,0] neg_lo:[0,0,1] neg_hi:[0,0,1]
	v_mov_b32_e32 v36, v40
	v_accvgpr_write_b32 a35, v41
	v_mov_b32_e32 v37, v215
	v_pk_fma_f32 v[46:47], v[80:81], s[26:27], v[48:49]
	v_pk_fma_f32 v[40:41], v[80:81], s[26:27], v[48:49] neg_lo:[1,0,0] neg_hi:[1,0,0]
	v_accvgpr_write_b32 a40, v48
	v_pk_add_f32 v[36:37], v[78:79], v[36:37]
	v_accvgpr_write_b32 a41, v49
	v_mov_b32_e32 v40, v46
	v_pk_mul_f32 v[48:49], v[126:127], s[46:47]
	v_accvgpr_write_b32 a37, v47
	v_pk_add_f32 v[36:37], v[40:41], v[36:37]
	v_pk_fma_f32 v[46:47], v[82:83], s[6:7], v[48:49]
	v_pk_fma_f32 v[40:41], v[82:83], s[6:7], v[48:49] neg_lo:[1,0,0] neg_hi:[1,0,0]
	v_accvgpr_write_b32 a44, v48
	v_accvgpr_write_b32 a45, v49
	v_mov_b32_e32 v40, v46
	v_pk_mul_f32 v[48:49], v[124:125], s[44:45]
	s_mov_b32 s53, 0x3f06c442
	v_accvgpr_write_b32 a39, v47
	v_pk_add_f32 v[36:37], v[40:41], v[36:37]
	v_pk_fma_f32 v[46:47], v[84:85], s[20:21], v[48:49]
	v_pk_fma_f32 v[40:41], v[84:85], s[20:21], v[48:49] neg_lo:[1,0,0] neg_hi:[1,0,0]
	v_accvgpr_write_b32 a46, v48
	s_mov_b32 s72, s53
	s_mov_b32 s73, s59
	v_accvgpr_write_b32 a47, v49
	v_mov_b32_e32 v40, v46
	s_mov_b32 s52, s59
	v_pk_mul_f32 v[48:49], v[122:123], s[72:73]
	v_accvgpr_write_b32 a43, v47
	v_pk_add_f32 v[36:37], v[40:41], v[36:37]
	v_pk_fma_f32 v[46:47], v[86:87], s[52:53], v[48:49]
	v_pk_fma_f32 v[40:41], v[86:87], s[52:53], v[48:49] neg_lo:[1,0,0] neg_hi:[1,0,0]
	v_pk_mul_f32 v[64:65], v[120:121], s[54:55]
	v_mov_b32_e32 v40, v46
	v_accvgpr_write_b32 a49, v47
	v_pk_add_f32 v[36:37], v[40:41], v[36:37]
	v_pk_fma_f32 v[46:47], v[88:89], s[18:19], v[64:65]
	v_pk_fma_f32 v[40:41], v[88:89], s[18:19], v[64:65] neg_lo:[1,0,0] neg_hi:[1,0,0]
	v_pk_mul_f32 v[62:63], v[118:119], s[60:61]
	v_mov_b32_e32 v40, v46
	;; [unrolled: 6-line block ×3, first 2 shown]
	v_accvgpr_write_b32 a55, v47
	v_pk_add_f32 v[36:37], v[40:41], v[36:37]
	v_pk_fma_f32 v[46:47], v[92:93], s[0:1], v[60:61]
	v_pk_fma_f32 v[40:41], v[92:93], s[0:1], v[60:61] neg_lo:[1,0,0] neg_hi:[1,0,0]
	s_mov_b32 s74, s43
	v_mov_b32_e32 v40, v46
	v_accvgpr_write_b32 a32, v50
	v_pk_add_f32 v[40:41], v[40:41], v[36:37]
	s_mov_b32 s60, s61
	v_pk_mul_f32 v[36:37], v[110:111], s[74:75] op_sel_hi:[1,0]
	v_accvgpr_write_b32 a33, v51
	v_accvgpr_write_b32 a53, v49
	;; [unrolled: 1-line block ×3, first 2 shown]
	v_pk_fma_f32 v[46:47], v[108:109], s[60:61], v[36:37] op_sel:[0,0,1] op_sel_hi:[1,0,0]
	v_pk_fma_f32 v[246:247], v[108:109], s[60:61], v[36:37] op_sel:[0,0,1] op_sel_hi:[1,0,0] neg_lo:[0,0,1] neg_hi:[0,0,1]
	v_pk_mul_f32 v[50:51], v[106:107], s[46:47]
	s_mov_b32 s61, 0x3e3c28d5
	v_accvgpr_write_b32 a52, v48
	v_mov_b32_e32 v36, v46
	v_accvgpr_write_b32 a59, v47
	v_mov_b32_e32 v37, v247
	v_pk_fma_f32 v[48:49], v[80:81], s[6:7], v[50:51]
	v_pk_fma_f32 v[46:47], v[80:81], s[6:7], v[50:51] neg_lo:[1,0,0] neg_hi:[1,0,0]
	s_mov_b32 s74, s61
	s_mov_b32 s75, s45
	v_pk_add_f32 v[36:37], v[78:79], v[36:37]
	v_mov_b32_e32 v46, v48
	s_mov_b32 s60, s45
	v_pk_mul_f32 v[254:255], v[126:127], s[74:75]
	v_accvgpr_write_b32 a61, v49
	v_pk_add_f32 v[36:37], v[46:47], v[36:37]
	v_pk_fma_f32 v[48:49], v[82:83], s[60:61], v[254:255]
	v_pk_fma_f32 v[46:47], v[82:83], s[60:61], v[254:255] neg_lo:[1,0,0] neg_hi:[1,0,0]
	v_pk_mul_f32 v[70:71], v[124:125], s[54:55]
	v_mov_b32_e32 v46, v48
	v_accvgpr_write_b32 a63, v49
	v_pk_add_f32 v[36:37], v[46:47], v[36:37]
	v_pk_fma_f32 v[48:49], v[84:85], s[18:19], v[70:71]
	v_pk_fma_f32 v[46:47], v[84:85], s[18:19], v[70:71] neg_lo:[1,0,0] neg_hi:[1,0,0]
	v_pk_mul_f32 v[232:233], v[122:123], s[62:63]
	v_mov_b32_e32 v46, v48
	;; [unrolled: 6-line block ×4, first 2 shown]
	v_accvgpr_write_b32 a69, v49
	v_pk_add_f32 v[36:37], v[46:47], v[36:37]
	v_pk_fma_f32 v[48:49], v[90:91], s[26:27], v[248:249]
	v_pk_fma_f32 v[46:47], v[90:91], s[26:27], v[248:249] neg_lo:[1,0,0] neg_hi:[1,0,0]
	v_accvgpr_write_b32 a71, v49
	v_mov_b32_e32 v46, v48
	v_pk_mul_f32 v[48:49], v[116:117], s[58:59]
	v_pk_add_f32 v[46:47], v[46:47], v[36:37]
	v_pk_fma_f32 v[36:37], v[92:93], s[16:17], v[48:49]
	v_mov_b32_e32 v97, v73
	v_pk_fma_f32 v[72:73], v[92:93], s[16:17], v[48:49] neg_lo:[1,0,0] neg_hi:[1,0,0]
	s_mov_b32 s74, s57
	v_mov_b32_e32 v72, v36
	v_pk_add_f32 v[46:47], v[72:73], v[46:47]
	ds_write2_b64 v67, v[40:41], v[46:47] offset0:2 offset1:3
	v_pk_mul_f32 v[40:41], v[110:111], s[68:69] op_sel_hi:[1,0]
	v_pk_mul_f32 v[224:225], v[106:107], s[44:45]
	v_pk_fma_f32 v[58:59], v[108:109], s[74:75], v[40:41] op_sel:[0,0,1] op_sel_hi:[1,0,0]
	v_pk_fma_f32 v[40:41], v[108:109], s[74:75], v[40:41] op_sel:[0,0,1] op_sel_hi:[1,0,0] neg_lo:[0,0,1] neg_hi:[0,0,1]
	v_mov_b32_e32 v72, v58
	v_mov_b32_e32 v73, v41
	v_pk_fma_f32 v[56:57], v[80:81], s[20:21], v[224:225]
	v_pk_fma_f32 v[74:75], v[80:81], s[20:21], v[224:225] neg_lo:[1,0,0] neg_hi:[1,0,0]
	v_pk_add_f32 v[72:73], v[78:79], v[72:73]
	v_mov_b32_e32 v74, v56
	v_mov_b32_e32 v215, v216
	v_pk_mul_f32 v[216:217], v[126:127], s[54:55]
	v_pk_add_f32 v[72:73], v[74:75], v[72:73]
	v_pk_fma_f32 v[54:55], v[82:83], s[18:19], v[216:217]
	v_pk_fma_f32 v[74:75], v[82:83], s[18:19], v[216:217] neg_lo:[1,0,0] neg_hi:[1,0,0]
	v_pk_mul_f32 v[236:237], v[120:121], s[58:59]
	v_mov_b32_e32 v74, v54
	v_pk_add_f32 v[72:73], v[74:75], v[72:73]
	v_pk_mul_f32 v[74:75], v[124:125], s[48:49]
	v_pk_fma_f32 v[46:47], v[88:89], s[16:17], v[236:237]
	v_pk_fma_f32 v[52:53], v[84:85], s[0:1], v[74:75]
	v_pk_fma_f32 v[76:77], v[84:85], s[0:1], v[74:75] neg_lo:[1,0,0] neg_hi:[1,0,0]
	v_pk_mul_f32 v[252:253], v[118:119], s[64:65]
	v_mov_b32_e32 v76, v52
	v_pk_add_f32 v[218:219], v[76:77], v[72:73]
	v_pk_mul_f32 v[76:77], v[122:123], s[70:71]
	v_pk_fma_f32 v[244:245], v[90:91], s[40:41], v[252:253]
	v_pk_fma_f32 v[72:73], v[86:87], s[42:43], v[76:77]
	v_pk_fma_f32 v[222:223], v[86:87], s[42:43], v[76:77] neg_lo:[1,0,0] neg_hi:[1,0,0]
	s_mov_b32 s48, s55
	v_mov_b32_e32 v222, v72
	v_pk_add_f32 v[218:219], v[222:223], v[218:219]
	v_pk_fma_f32 v[222:223], v[88:89], s[16:17], v[236:237] neg_lo:[1,0,0] neg_hi:[1,0,0]
	v_pk_mul_f32 v[110:111], v[110:111], s[66:67] op_sel_hi:[1,0]
	v_mov_b32_e32 v222, v46
	v_pk_add_f32 v[218:219], v[222:223], v[218:219]
	v_pk_fma_f32 v[222:223], v[90:91], s[40:41], v[252:253] neg_lo:[1,0,0] neg_hi:[1,0,0]
	v_pk_mul_f32 v[106:107], v[106:107], s[72:73]
	v_mov_b32_e32 v222, v244
	v_pk_add_f32 v[226:227], v[222:223], v[218:219]
	v_pk_mul_f32 v[222:223], v[116:117], s[62:63]
	v_pk_fma_f32 v[242:243], v[80:81], s[52:53], v[106:107]
	v_pk_fma_f32 v[234:235], v[92:93], s[38:39], v[222:223]
	v_pk_fma_f32 v[218:219], v[92:93], s[38:39], v[222:223] neg_lo:[1,0,0] neg_hi:[1,0,0]
	v_pk_fma_f32 v[238:239], v[80:81], s[52:53], v[106:107] neg_lo:[1,0,0] neg_hi:[1,0,0]
	v_mov_b32_e32 v218, v234
	v_pk_add_f32 v[218:219], v[218:219], v[226:227]
	v_pk_fma_f32 v[226:227], v[108:109], s[48:49], v[110:111] op_sel:[0,0,1] op_sel_hi:[1,0,0]
	v_pk_fma_f32 v[108:109], v[108:109], s[48:49], v[110:111] op_sel:[0,0,1] op_sel_hi:[1,0,0] neg_lo:[0,0,1] neg_hi:[0,0,1]
	v_mov_b32_e32 v110, v226
	v_mov_b32_e32 v111, v109
	v_pk_add_f32 v[110:111], v[78:79], v[110:111]
	v_mov_b32_e32 v238, v242
	v_pk_mul_f32 v[126:127], v[126:127], s[62:63]
	v_accvgpr_write_b32 a73, v37
	v_pk_add_f32 v[110:111], v[238:239], v[110:111]
	v_pk_fma_f32 v[36:37], v[82:83], s[38:39], v[126:127]
	v_pk_fma_f32 v[238:239], v[82:83], s[38:39], v[126:127] neg_lo:[1,0,0] neg_hi:[1,0,0]
	v_pk_mul_f32 v[124:125], v[124:125], s[70:71]
	v_mov_b32_e32 v238, v36
	v_pk_add_f32 v[110:111], v[238:239], v[110:111]
	v_pk_fma_f32 v[102:103], v[84:85], s[42:43], v[124:125]
	v_pk_fma_f32 v[238:239], v[84:85], s[42:43], v[124:125] neg_lo:[1,0,0] neg_hi:[1,0,0]
	v_pk_mul_f32 v[122:123], v[122:123], s[44:45]
	v_mov_b32_e32 v238, v102
	;; [unrolled: 5-line block ×4, first 2 shown]
	v_pk_add_f32 v[110:111], v[238:239], v[110:111]
	v_mov_b32_e32 v39, v213
	v_pk_fma_f32 v[212:213], v[90:91], s[24:25], v[118:119]
	v_pk_fma_f32 v[238:239], v[90:91], s[24:25], v[118:119] neg_lo:[1,0,0] neg_hi:[1,0,0]
	v_pk_mul_f32 v[116:117], v[116:117], s[46:47]
	v_mov_b32_e32 v238, v212
	v_pk_add_f32 v[110:111], v[238:239], v[110:111]
	v_pk_fma_f32 v[250:251], v[92:93], s[6:7], v[116:117]
	v_pk_fma_f32 v[238:239], v[92:93], s[6:7], v[116:117] neg_lo:[1,0,0] neg_hi:[1,0,0]
	v_pk_add_f32 v[96:97], v[78:79], v[96:97]
	v_mov_b32_e32 v238, v250
	v_pk_add_f32 v[110:111], v[238:239], v[110:111]
	ds_write2_b64 v67, v[218:219], v[110:111] offset0:4 offset1:5
	v_pk_mul_f32 v[110:111], v[80:81], s[0:1]
	v_mov_b32_e32 v109, v227
	v_pk_add_f32 v[110:111], v[228:229], v[110:111] neg_lo:[0,1] neg_hi:[0,1]
	v_mov_b32_e32 v41, v59
	v_mov_b32_e32 v99, v111
	v_pk_mul_f32 v[110:111], v[104:105], s[6:7]
	v_pk_mul_f32 v[104:105], v[104:105], s[16:17]
	v_pk_add_f32 v[110:111], v[114:115], v[110:111] neg_lo:[0,1] neg_hi:[0,1]
	v_pk_mul_f32 v[114:115], v[82:83], s[26:27]
	v_mov_b32_e32 v113, v111
	v_pk_mul_f32 v[110:111], v[80:81], s[18:19]
	v_pk_add_f32 v[104:105], v[190:191], v[104:105] neg_lo:[0,1] neg_hi:[0,1]
	v_pk_add_f32 v[110:111], v[128:129], v[110:111] neg_lo:[0,1] neg_hi:[0,1]
	v_mov_b32_e32 v149, v105
	v_mov_b32_e32 v131, v111
	v_pk_add_f32 v[110:111], v[78:79], v[112:113]
	v_pk_mul_f32 v[112:113], v[82:83], s[24:25]
	v_pk_add_f32 v[110:111], v[130:131], v[110:111]
	v_pk_add_f32 v[112:113], v[132:133], v[112:113] neg_lo:[0,1] neg_hi:[0,1]
	v_pk_add_f32 v[114:115], v[168:169], v[114:115] neg_lo:[0,1] neg_hi:[0,1]
	v_mov_b32_e32 v135, v113
	v_pk_mul_f32 v[112:113], v[84:85], s[16:17]
	v_pk_add_f32 v[110:111], v[134:135], v[110:111]
	v_pk_add_f32 v[112:113], v[136:137], v[112:113] neg_lo:[0,1] neg_hi:[0,1]
	v_pk_mul_f32 v[136:137], v[82:83], s[16:17]
	v_mov_b32_e32 v139, v113
	v_pk_mul_f32 v[112:113], v[86:87], s[36:37]
	v_pk_mul_f32 v[128:129], v[84:85], s[40:41]
	v_pk_add_f32 v[112:113], v[144:145], v[112:113] neg_lo:[0,1] neg_hi:[0,1]
	v_pk_add_f32 v[132:133], v[78:79], v[148:149]
	v_mov_b32_e32 v151, v113
	v_pk_mul_f32 v[112:113], v[88:89], s[22:23]
	v_mov_b32_e32 v157, v115
	v_pk_add_f32 v[112:113], v[166:167], v[112:113] neg_lo:[0,1] neg_hi:[0,1]
	v_pk_mul_f32 v[114:115], v[84:85], s[38:39]
	v_mov_b32_e32 v171, v113
	v_pk_mul_f32 v[112:113], v[90:91], s[20:21]
	v_pk_add_f32 v[96:97], v[98:99], v[96:97]
	v_pk_add_f32 v[112:113], v[176:177], v[112:113] neg_lo:[0,1] neg_hi:[0,1]
	v_pk_add_f32 v[98:99], v[180:181], v[136:137] neg_lo:[0,1] neg_hi:[0,1]
	v_mov_b32_e32 v187, v113
	v_pk_mul_f32 v[112:113], v[92:93], s[28:29]
	v_pk_add_f32 v[110:111], v[138:139], v[110:111]
	v_pk_add_f32 v[112:113], v[204:205], v[112:113] neg_lo:[0,1] neg_hi:[0,1]
	v_pk_mul_f32 v[104:105], v[86:87], s[24:25]
	v_mov_b32_e32 v199, v113
	v_pk_mul_f32 v[112:113], v[80:81], s[28:29]
	v_pk_mul_f32 v[138:139], v[86:87], s[6:7]
	v_pk_add_f32 v[112:113], v[178:179], v[112:113] neg_lo:[0,1] neg_hi:[0,1]
	v_pk_add_f32 v[128:129], v[164:165], v[128:129] neg_lo:[0,1] neg_hi:[0,1]
	v_mov_b32_e32 v163, v113
	v_pk_add_f32 v[132:133], v[162:163], v[132:133]
	v_mov_b32_e32 v175, v99
	v_pk_add_f32 v[98:99], v[188:189], v[114:115] neg_lo:[0,1] neg_hi:[0,1]
	v_pk_mul_f32 v[130:131], v[88:89], s[20:21]
	v_pk_add_f32 v[132:133], v[156:157], v[132:133]
	v_pk_mul_f32 v[144:145], v[88:89], s[28:29]
	v_mov_b32_e32 v155, v129
	v_pk_add_f32 v[104:105], v[152:153], v[104:105] neg_lo:[0,1] neg_hi:[0,1]
	v_pk_add_f32 v[96:97], v[174:175], v[96:97]
	v_mov_b32_e32 v185, v99
	v_pk_add_f32 v[98:99], v[194:195], v[138:139] neg_lo:[0,1] neg_hi:[0,1]
	v_pk_mul_f32 v[112:113], v[90:91], s[38:39]
	v_pk_mul_f32 v[128:129], v[90:91], s[30:31]
	v_pk_add_f32 v[132:133], v[154:155], v[132:133]
	v_mov_b32_e32 v143, v105
	v_pk_add_f32 v[130:131], v[146:147], v[130:131] neg_lo:[0,1] neg_hi:[0,1]
	v_pk_add_f32 v[96:97], v[184:185], v[96:97]
	v_mov_b32_e32 v193, v99
	v_pk_add_f32 v[98:99], v[200:201], v[144:145] neg_lo:[0,1] neg_hi:[0,1]
	v_pk_add_f32 v[110:111], v[150:151], v[110:111]
	v_pk_mul_f32 v[134:135], v[92:93], s[30:31]
	v_pk_mul_f32 v[148:149], v[92:93], s[36:37]
	v_pk_add_f32 v[104:105], v[142:143], v[132:133]
	v_mov_b32_e32 v141, v131
	v_pk_add_f32 v[112:113], v[158:159], v[112:113] neg_lo:[0,1] neg_hi:[0,1]
	v_pk_add_f32 v[96:97], v[192:193], v[96:97]
	v_mov_b32_e32 v197, v99
	v_pk_add_f32 v[98:99], v[206:207], v[128:129] neg_lo:[0,1] neg_hi:[0,1]
	v_pk_add_f32 v[110:111], v[170:171], v[110:111]
	v_pk_add_f32 v[104:105], v[140:141], v[104:105]
	v_mov_b32_e32 v161, v113
	v_pk_add_f32 v[112:113], v[172:173], v[134:135] neg_lo:[0,1] neg_hi:[0,1]
	v_pk_add_f32 v[96:97], v[196:197], v[96:97]
	v_mov_b32_e32 v203, v99
	v_pk_add_f32 v[98:99], v[210:211], v[148:149] neg_lo:[0,1] neg_hi:[0,1]
	v_pk_add_f32 v[110:111], v[186:187], v[110:111]
	v_pk_add_f32 v[104:105], v[160:161], v[104:105]
	v_mov_b32_e32 v183, v113
	v_pk_add_f32 v[96:97], v[202:203], v[96:97]
	v_mov_b32_e32 v209, v99
	v_pk_add_f32 v[110:111], v[198:199], v[110:111]
	v_pk_add_f32 v[104:105], v[182:183], v[104:105]
	;; [unrolled: 1-line block ×3, first 2 shown]
	v_pk_fma_f32 v[98:99], v[80:81], s[52:53], v[106:107] neg_lo:[0,0,1] neg_hi:[0,0,1]
	ds_write2_b64 v67, v[110:111], v[104:105] offset0:6 offset1:7
	ds_write2_b64 v67, v[96:97], v[94:95] offset0:8 offset1:9
	;; [unrolled: 1-line block ×3, first 2 shown]
	v_pk_add_f32 v[96:97], v[78:79], v[108:109]
	v_mov_b32_e32 v99, v243
	v_pk_add_f32 v[96:97], v[98:99], v[96:97]
	v_pk_fma_f32 v[98:99], v[82:83], s[38:39], v[126:127] neg_lo:[0,0,1] neg_hi:[0,0,1]
	v_pk_fma_f32 v[58:59], v[80:81], s[20:21], v[224:225] neg_lo:[0,0,1] neg_hi:[0,0,1]
	v_mov_b32_e32 v99, v37
	v_pk_add_f32 v[36:37], v[98:99], v[96:97]
	v_pk_fma_f32 v[96:97], v[84:85], s[42:43], v[124:125] neg_lo:[0,0,1] neg_hi:[0,0,1]
	v_pk_add_f32 v[40:41], v[78:79], v[40:41]
	v_mov_b32_e32 v97, v103
	v_mov_b32_e32 v59, v57
	v_pk_fma_f32 v[56:57], v[82:83], s[18:19], v[216:217] neg_lo:[0,0,1] neg_hi:[0,0,1]
	v_pk_add_f32 v[36:37], v[96:97], v[36:37]
	v_pk_fma_f32 v[96:97], v[86:87], s[20:21], v[122:123] neg_lo:[0,0,1] neg_hi:[0,0,1]
	v_pk_add_f32 v[40:41], v[58:59], v[40:41]
	v_mov_b32_e32 v57, v55
	v_pk_fma_f32 v[54:55], v[84:85], s[0:1], v[74:75] neg_lo:[0,0,1] neg_hi:[0,0,1]
	v_mov_b32_e32 v97, v101
	v_pk_add_f32 v[40:41], v[56:57], v[40:41]
	v_mov_b32_e32 v55, v53
	v_pk_fma_f32 v[52:53], v[86:87], s[42:43], v[76:77] neg_lo:[0,0,1] neg_hi:[0,0,1]
	v_pk_add_f32 v[36:37], v[96:97], v[36:37]
	v_pk_fma_f32 v[96:97], v[88:89], s[36:37], v[120:121] neg_lo:[0,0,1] neg_hi:[0,0,1]
	v_pk_add_f32 v[40:41], v[54:55], v[40:41]
	v_mov_b32_e32 v53, v73
	v_mov_b32_e32 v97, v221
	v_pk_add_f32 v[40:41], v[52:53], v[40:41]
	v_pk_fma_f32 v[52:53], v[88:89], s[16:17], v[236:237] neg_lo:[0,0,1] neg_hi:[0,0,1]
	v_pk_add_f32 v[36:37], v[96:97], v[36:37]
	v_pk_fma_f32 v[96:97], v[90:91], s[24:25], v[118:119] neg_lo:[0,0,1] neg_hi:[0,0,1]
	v_mov_b32_e32 v53, v47
	v_pk_fma_f32 v[46:47], v[90:91], s[40:41], v[252:253] neg_lo:[0,0,1] neg_hi:[0,0,1]
	v_mov_b32_e32 v97, v213
	v_pk_add_f32 v[40:41], v[52:53], v[40:41]
	v_mov_b32_e32 v47, v245
	v_pk_add_f32 v[36:37], v[96:97], v[36:37]
	v_pk_fma_f32 v[96:97], v[92:93], s[6:7], v[116:117] neg_lo:[0,0,1] neg_hi:[0,0,1]
	v_pk_add_f32 v[40:41], v[46:47], v[40:41]
	v_pk_fma_f32 v[46:47], v[92:93], s[38:39], v[222:223] neg_lo:[0,0,1] neg_hi:[0,0,1]
	v_mov_b32_e32 v97, v251
	v_mov_b32_e32 v47, v235
	v_pk_add_f32 v[36:37], v[96:97], v[36:37]
	v_pk_add_f32 v[40:41], v[46:47], v[40:41]
	ds_write2_b64 v67, v[36:37], v[40:41] offset0:12 offset1:13
	v_accvgpr_read_b32 v247, a59
	v_pk_fma_f32 v[40:41], v[80:81], s[6:7], v[50:51] neg_lo:[0,0,1] neg_hi:[0,0,1]
	v_pk_add_f32 v[36:37], v[78:79], v[246:247]
	v_accvgpr_read_b32 v41, a61
	v_pk_add_f32 v[36:37], v[40:41], v[36:37]
	v_pk_fma_f32 v[40:41], v[82:83], s[60:61], v[254:255] neg_lo:[0,0,1] neg_hi:[0,0,1]
	v_accvgpr_read_b32 v47, a41
	v_accvgpr_read_b32 v41, a63
	v_pk_add_f32 v[36:37], v[40:41], v[36:37]
	v_pk_fma_f32 v[40:41], v[84:85], s[18:19], v[70:71] neg_lo:[0,0,1] neg_hi:[0,0,1]
	v_accvgpr_read_b32 v46, a40
	v_accvgpr_read_b32 v41, a65
	v_pk_add_f32 v[36:37], v[40:41], v[36:37]
	v_pk_fma_f32 v[40:41], v[86:87], s[38:39], v[232:233] neg_lo:[0,0,1] neg_hi:[0,0,1]
	v_mov_b32_e32 v216, v215
	v_accvgpr_read_b32 v41, a67
	v_pk_add_f32 v[36:37], v[40:41], v[36:37]
	v_pk_fma_f32 v[40:41], v[88:89], s[24:25], v[240:241] neg_lo:[0,0,1] neg_hi:[0,0,1]
	v_accvgpr_read_b32 v215, a35
	v_accvgpr_read_b32 v41, a69
	v_pk_add_f32 v[36:37], v[40:41], v[36:37]
	v_pk_fma_f32 v[40:41], v[90:91], s[26:27], v[248:249] neg_lo:[0,0,1] neg_hi:[0,0,1]
	v_pk_fma_f32 v[46:47], v[80:81], s[26:27], v[46:47] neg_lo:[0,0,1] neg_hi:[0,0,1]
	v_accvgpr_read_b32 v41, a71
	v_pk_add_f32 v[36:37], v[40:41], v[36:37]
	v_pk_fma_f32 v[40:41], v[92:93], s[16:17], v[48:49] neg_lo:[0,0,1] neg_hi:[0,0,1]
	v_accvgpr_read_b32 v47, a37
	v_accvgpr_read_b32 v41, a73
	v_pk_add_f32 v[36:37], v[40:41], v[36:37]
	v_pk_add_f32 v[40:41], v[78:79], v[214:215]
	v_mov_b32_e32 v213, v39
	v_pk_add_f32 v[40:41], v[46:47], v[40:41]
	v_accvgpr_read_b32 v47, a45
	v_accvgpr_read_b32 v46, a44
	v_pk_fma_f32 v[46:47], v[82:83], s[6:7], v[46:47] neg_lo:[0,0,1] neg_hi:[0,0,1]
	v_accvgpr_read_b32 v39, a5
	v_accvgpr_read_b32 v47, a39
	v_pk_add_f32 v[40:41], v[46:47], v[40:41]
	v_accvgpr_read_b32 v46, a46
	v_accvgpr_read_b32 v47, a47
	v_pk_fma_f32 v[46:47], v[84:85], s[20:21], v[46:47] neg_lo:[0,0,1] neg_hi:[0,0,1]
	v_accvgpr_read_b32 v212, a0
	v_accvgpr_read_b32 v47, a43
	;; [unrolled: 6-line block ×3, first 2 shown]
	v_pk_add_f32 v[40:41], v[46:47], v[40:41]
	v_pk_fma_f32 v[46:47], v[88:89], s[18:19], v[64:65] neg_lo:[0,0,1] neg_hi:[0,0,1]
	v_accvgpr_read_b32 v214, a2
	v_accvgpr_read_b32 v47, a51
	v_pk_add_f32 v[40:41], v[46:47], v[40:41]
	v_pk_fma_f32 v[46:47], v[90:91], s[28:29], v[62:63] neg_lo:[0,0,1] neg_hi:[0,0,1]
	s_nop 0
	v_accvgpr_read_b32 v47, a55
	v_pk_add_f32 v[40:41], v[46:47], v[40:41]
	v_pk_fma_f32 v[46:47], v[92:93], s[0:1], v[60:61] neg_lo:[0,0,1] neg_hi:[0,0,1]
	s_nop 0
	v_accvgpr_read_b32 v47, a57
	v_pk_add_f32 v[40:41], v[46:47], v[40:41]
	ds_write2_b64 v67, v[36:37], v[40:41] offset0:14 offset1:15
	v_pk_add_f32 v[36:37], v[78:79], v[38:39]
	v_accvgpr_read_b32 v39, a9
	v_accvgpr_read_b32 v38, a8
	v_pk_fma_f32 v[38:39], v[80:81], s[22:23], v[38:39] neg_lo:[0,0,1] neg_hi:[0,0,1]
	s_nop 0
	v_accvgpr_read_b32 v39, a7
	v_pk_add_f32 v[36:37], v[38:39], v[36:37]
	v_accvgpr_read_b32 v39, a15
	v_accvgpr_read_b32 v38, a14
	v_pk_fma_f32 v[38:39], v[82:83], s[42:43], v[38:39] neg_lo:[0,0,1] neg_hi:[0,0,1]
	s_nop 0
	v_accvgpr_read_b32 v39, a11
	;; [unrolled: 6-line block ×7, first 2 shown]
	v_pk_add_f32 v[36:37], v[38:39], v[36:37]
	ds_write_b64 v67, v[36:37] offset:128
.LBB0_17:
	s_or_b64 exec, exec, s[34:35]
	v_mov_b32_e32 v40, v12
	v_mov_b32_e32 v41, v12
	v_add_u32_e32 v12, 0x800, v69
	s_waitcnt lgkmcnt(0)
	s_barrier
	ds_read2_b64 v[50:53], v69 offset1:51
	ds_read2_b64 v[36:39], v69 offset0:102 offset1:187
	ds_read2_b64 v[54:57], v12 offset0:118 offset1:169
	v_add_u32_e32 v12, 0x400, v69
	ds_read2_b64 v[46:49], v12 offset0:110 offset1:161
	ds_read_b64 v[58:59], v69 offset:3808
	v_mov_b32_e32 v72, v4
	v_mov_b32_e32 v73, v4
	;; [unrolled: 1-line block ×16, first 2 shown]
	s_and_saveexec_b64 s[0:1], s[2:3]
	s_cbranch_execz .LBB0_19
; %bb.18:
	v_add_u32_e32 v42, 0xa00, v69
	ds_read_b64 v[94:95], v69 offset:1224
	ds_read2_b64 v[42:45], v42 offset0:20 offset1:207
.LBB0_19:
	s_or_b64 exec, exec, s[0:1]
	s_waitcnt lgkmcnt(3)
	v_pk_mul_f32 v[4:5], v[4:5], v[38:39]
	s_waitcnt lgkmcnt(2)
	v_pk_mul_f32 v[6:7], v[6:7], v[54:55]
	v_pk_fma_f32 v[74:75], v[72:73], v[38:39], v[4:5] op_sel:[0,0,1] op_sel_hi:[1,1,0]
	v_pk_fma_f32 v[4:5], v[72:73], v[38:39], v[4:5] op_sel:[0,0,1] op_sel_hi:[1,1,0] neg_lo:[0,0,1] neg_hi:[0,0,1]
	s_mov_b32 s0, 0x3f5db3d7
	v_mov_b32_e32 v75, v5
	v_pk_fma_f32 v[4:5], v[70:71], v[54:55], v[6:7] op_sel:[0,0,1] op_sel_hi:[1,1,0]
	v_pk_fma_f32 v[6:7], v[70:71], v[54:55], v[6:7] op_sel:[0,0,1] op_sel_hi:[1,1,0] neg_lo:[0,0,1] neg_hi:[0,0,1]
	s_waitcnt lgkmcnt(1)
	v_pk_mul_f32 v[8:9], v[8:9], v[46:47]
	v_mov_b32_e32 v5, v7
	v_pk_add_f32 v[6:7], v[50:51], v[74:75]
	v_pk_add_f32 v[38:39], v[74:75], v[4:5]
	;; [unrolled: 1-line block ×3, first 2 shown]
	v_pk_add_f32 v[4:5], v[74:75], v[4:5] neg_lo:[0,1] neg_hi:[0,1]
	v_pk_fma_f32 v[38:39], v[38:39], 0.5, v[50:51] op_sel_hi:[1,0,1] neg_lo:[1,0,0] neg_hi:[1,0,0]
	v_pk_mul_f32 v[4:5], v[4:5], s[0:1] op_sel_hi:[1,0]
	v_pk_mul_f32 v[10:11], v[10:11], v[56:57]
	v_pk_add_f32 v[50:51], v[38:39], v[4:5] op_sel:[0,1] op_sel_hi:[1,0] neg_lo:[0,1] neg_hi:[0,1]
	v_pk_add_f32 v[4:5], v[38:39], v[4:5] op_sel:[0,1] op_sel_hi:[1,0]
	v_mov_b32_e32 v38, v50
	v_mov_b32_e32 v39, v5
	;; [unrolled: 1-line block ×3, first 2 shown]
	s_waitcnt lgkmcnt(0)
	s_barrier
	ds_write2_b64 v215, v[6:7], v[38:39] offset1:17
	ds_write_b64 v215, v[4:5] offset:272
	v_pk_fma_f32 v[4:5], v[62:63], v[46:47], v[8:9] op_sel:[0,0,1] op_sel_hi:[1,1,0]
	v_pk_fma_f32 v[6:7], v[62:63], v[46:47], v[8:9] op_sel:[0,0,1] op_sel_hi:[1,1,0] neg_lo:[0,0,1] neg_hi:[0,0,1]
	v_pk_fma_f32 v[8:9], v[60:61], v[56:57], v[10:11] op_sel:[0,0,1] op_sel_hi:[1,1,0] neg_lo:[0,0,1] neg_hi:[0,0,1]
	v_mov_b32_e32 v5, v7
	v_pk_fma_f32 v[6:7], v[60:61], v[56:57], v[10:11] op_sel:[0,0,1] op_sel_hi:[1,1,0]
	v_pk_mul_f32 v[12:13], v[12:13], v[48:49]
	v_mov_b32_e32 v7, v9
	v_pk_add_f32 v[8:9], v[52:53], v[4:5]
	v_pk_add_f32 v[10:11], v[4:5], v[6:7]
	v_pk_add_f32 v[4:5], v[4:5], v[6:7] neg_lo:[0,1] neg_hi:[0,1]
	v_pk_fma_f32 v[10:11], v[10:11], 0.5, v[52:53] op_sel_hi:[1,0,1] neg_lo:[1,0,0] neg_hi:[1,0,0]
	v_pk_mul_f32 v[4:5], v[4:5], s[0:1] op_sel_hi:[1,0]
	v_pk_add_f32 v[8:9], v[8:9], v[6:7]
	v_pk_add_f32 v[6:7], v[10:11], v[4:5] op_sel:[0,1] op_sel_hi:[1,0] neg_lo:[0,1] neg_hi:[0,1]
	v_pk_add_f32 v[4:5], v[10:11], v[4:5] op_sel:[0,1] op_sel_hi:[1,0]
	v_pk_mul_f32 v[14:15], v[14:15], v[58:59]
	v_mov_b32_e32 v11, v5
	v_mov_b32_e32 v5, v7
	;; [unrolled: 1-line block ×3, first 2 shown]
	ds_write_b64 v214, v[4:5] offset:272
	v_pk_fma_f32 v[4:5], v[40:41], v[48:49], v[12:13] op_sel:[0,0,1] op_sel_hi:[1,1,0]
	v_pk_fma_f32 v[6:7], v[40:41], v[48:49], v[12:13] op_sel:[0,0,1] op_sel_hi:[1,1,0] neg_lo:[0,0,1] neg_hi:[0,0,1]
	ds_write2_b64 v214, v[8:9], v[10:11] offset1:17
	v_mov_b32_e32 v5, v7
	v_pk_fma_f32 v[6:7], v[64:65], v[58:59], v[14:15] op_sel:[0,0,1] op_sel_hi:[1,1,0]
	v_pk_fma_f32 v[8:9], v[64:65], v[58:59], v[14:15] op_sel:[0,0,1] op_sel_hi:[1,1,0] neg_lo:[0,0,1] neg_hi:[0,0,1]
	s_nop 0
	v_mov_b32_e32 v7, v9
	v_pk_add_f32 v[8:9], v[36:37], v[4:5]
	v_pk_add_f32 v[10:11], v[4:5], v[6:7]
	v_pk_add_f32 v[4:5], v[4:5], v[6:7] neg_lo:[0,1] neg_hi:[0,1]
	v_pk_fma_f32 v[10:11], v[10:11], 0.5, v[36:37] op_sel_hi:[1,0,1] neg_lo:[1,0,0] neg_hi:[1,0,0]
	v_pk_mul_f32 v[4:5], v[4:5], s[0:1] op_sel_hi:[1,0]
	v_pk_add_f32 v[8:9], v[8:9], v[6:7]
	v_pk_add_f32 v[6:7], v[10:11], v[4:5] op_sel:[0,1] op_sel_hi:[1,0] neg_lo:[0,1] neg_hi:[0,1]
	v_pk_add_f32 v[4:5], v[10:11], v[4:5] op_sel:[0,1] op_sel_hi:[1,0]
	v_mov_b32_e32 v10, v6
	v_mov_b32_e32 v11, v5
	;; [unrolled: 1-line block ×3, first 2 shown]
	ds_write2_b64 v231, v[8:9], v[10:11] offset1:17
	ds_write_b64 v231, v[4:5] offset:272
	s_and_saveexec_b64 s[6:7], s[2:3]
	s_cbranch_execz .LBB0_21
; %bb.20:
	v_pk_mul_f32 v[4:5], v[0:1], v[42:43] op_sel:[0,1]
	v_add_u32_sdwa v8, v216, v213 dst_sel:DWORD dst_unused:UNUSED_PAD src0_sel:DWORD src1_sel:BYTE_0
	v_accvgpr_read_b32 v9, a1
	v_pk_mul_f32 v[6:7], v[2:3], v[44:45] op_sel:[0,1]
	v_lshl_add_u32 v10, v8, 3, v9
	v_pk_fma_f32 v[8:9], v[0:1], v[42:43], v[4:5] op_sel:[0,0,1] op_sel_hi:[1,1,0]
	v_pk_fma_f32 v[0:1], v[0:1], v[42:43], v[4:5] op_sel:[0,0,1] op_sel_hi:[1,0,0] neg_lo:[1,0,0] neg_hi:[1,0,0]
	s_nop 0
	v_mov_b32_e32 v9, v1
	v_pk_fma_f32 v[0:1], v[2:3], v[44:45], v[6:7] op_sel:[0,0,1] op_sel_hi:[1,1,0]
	v_pk_fma_f32 v[2:3], v[2:3], v[44:45], v[6:7] op_sel:[0,0,1] op_sel_hi:[1,0,0] neg_lo:[1,0,0] neg_hi:[1,0,0]
	s_nop 0
	v_mov_b32_e32 v1, v3
	v_pk_add_f32 v[2:3], v[94:95], v[8:9]
	v_pk_add_f32 v[4:5], v[8:9], v[0:1]
	v_pk_add_f32 v[2:3], v[2:3], v[0:1]
	v_pk_add_f32 v[0:1], v[8:9], v[0:1] neg_lo:[0,1] neg_hi:[0,1]
	v_pk_fma_f32 v[4:5], -0.5, v[4:5], v[94:95] op_sel_hi:[0,1,1]
	v_pk_mul_f32 v[0:1], v[0:1], s[0:1] op_sel_hi:[1,0]
	s_nop 0
	v_pk_add_f32 v[6:7], v[4:5], v[0:1] op_sel:[0,1] op_sel_hi:[1,0] neg_lo:[0,1] neg_hi:[0,1]
	v_pk_add_f32 v[0:1], v[4:5], v[0:1] op_sel:[0,1] op_sel_hi:[1,0]
	v_mov_b32_e32 v4, v6
	v_mov_b32_e32 v5, v1
	;; [unrolled: 1-line block ×3, first 2 shown]
	ds_write2_b64 v10, v[2:3], v[4:5] offset1:17
	ds_write_b64 v10, v[0:1] offset:272
.LBB0_21:
	s_or_b64 exec, exec, s[6:7]
	s_waitcnt lgkmcnt(0)
	s_barrier
	ds_read_b64 v[40:41], v69 offset:816
	ds_read2_b64 v[0:3], v69 offset1:51
	ds_read2_b64 v[4:7], v69 offset0:153 offset1:204
	v_add_u32_e32 v8, 0x400, v69
	ds_read2_b64 v[8:11], v8 offset0:127 offset1:178
	s_waitcnt lgkmcnt(3)
	v_pk_mul_f32 v[42:43], v[18:19], v[40:41] op_sel:[1,0]
	v_add_u32_e32 v36, 0x800, v69
	v_pk_fma_f32 v[44:45], v[18:19], v[40:41], v[42:43] op_sel:[0,0,1] op_sel_hi:[1,1,0]
	v_pk_fma_f32 v[18:19], v[18:19], v[40:41], v[42:43] op_sel:[0,0,1] op_sel_hi:[0,1,0] neg_lo:[0,0,1] neg_hi:[0,0,1]
	v_mov_b32_e32 v45, v19
	s_waitcnt lgkmcnt(1)
	v_pk_mul_f32 v[18:19], v[28:29], v[4:5] op_sel:[1,0]
	ds_read2_b64 v[12:15], v36 offset0:101 offset1:152
	ds_read2_b64 v[36:39], v36 offset0:203 offset1:254
	v_pk_fma_f32 v[40:41], v[28:29], v[4:5], v[18:19] op_sel:[0,0,1] op_sel_hi:[1,1,0]
	v_pk_fma_f32 v[4:5], v[28:29], v[4:5], v[18:19] op_sel:[0,0,1] op_sel_hi:[0,1,0] neg_lo:[0,0,1] neg_hi:[0,0,1]
	v_mov_b32_e32 v41, v5
	v_pk_mul_f32 v[4:5], v[30:31], v[6:7] op_sel:[1,0]
	s_mov_b32 s18, 0xbf0a6770
	v_pk_fma_f32 v[18:19], v[30:31], v[6:7], v[4:5] op_sel:[0,0,1] op_sel_hi:[1,1,0]
	v_pk_fma_f32 v[4:5], v[30:31], v[6:7], v[4:5] op_sel:[0,0,1] op_sel_hi:[0,1,0] neg_lo:[0,0,1] neg_hi:[0,0,1]
	v_mov_b32_e32 v19, v5
	s_waitcnt lgkmcnt(2)
	v_pk_mul_f32 v[4:5], v[24:25], v[8:9] op_sel:[1,0]
	s_mov_b32 s0, 0x3f575c64
	v_pk_fma_f32 v[6:7], v[24:25], v[8:9], v[4:5] op_sel:[0,0,1] op_sel_hi:[1,1,0]
	v_pk_fma_f32 v[4:5], v[24:25], v[8:9], v[4:5] op_sel:[0,0,1] op_sel_hi:[0,1,0] neg_lo:[0,0,1] neg_hi:[0,0,1]
	v_mov_b32_e32 v7, v5
	v_pk_mul_f32 v[4:5], v[26:27], v[10:11] op_sel:[1,0]
	s_mov_b32 s28, 0xbf68dda4
	v_pk_fma_f32 v[8:9], v[26:27], v[10:11], v[4:5] op_sel:[0,0,1] op_sel_hi:[1,1,0]
	v_pk_fma_f32 v[4:5], v[26:27], v[10:11], v[4:5] op_sel:[0,0,1] op_sel_hi:[0,1,0] neg_lo:[0,0,1] neg_hi:[0,0,1]
	v_mov_b32_e32 v9, v5
	s_waitcnt lgkmcnt(1)
	v_pk_mul_f32 v[4:5], v[20:21], v[12:13] op_sel:[1,0]
	s_mov_b32 s2, 0x3ed4b147
	;; [unrolled: 11-line block ×3, first 2 shown]
	v_pk_fma_f32 v[14:15], v[32:33], v[36:37], v[4:5] op_sel:[0,0,1] op_sel_hi:[1,1,0]
	v_pk_fma_f32 v[4:5], v[32:33], v[36:37], v[4:5] op_sel:[0,0,1] op_sel_hi:[0,1,0] neg_lo:[0,0,1] neg_hi:[0,0,1]
	v_mov_b32_e32 v15, v5
	v_pk_mul_f32 v[4:5], v[34:35], v[38:39] op_sel:[1,0]
	v_pk_add_f32 v[26:27], v[44:45], v[14:15]
	v_pk_fma_f32 v[20:21], v[34:35], v[38:39], v[4:5] op_sel:[0,0,1] op_sel_hi:[1,1,0]
	v_pk_fma_f32 v[4:5], v[34:35], v[38:39], v[4:5] op_sel:[0,0,1] op_sel_hi:[0,1,0] neg_lo:[0,0,1] neg_hi:[0,0,1]
	v_mov_b32_e32 v21, v5
	v_pk_mul_f32 v[4:5], v[16:17], v[2:3] op_sel:[1,0]
	s_mov_b32 s22, 0xbf4178ce
	v_pk_fma_f32 v[22:23], v[16:17], v[2:3], v[4:5] op_sel:[0,0,1] op_sel_hi:[1,1,0]
	v_pk_fma_f32 v[2:3], v[16:17], v[2:3], v[4:5] op_sel:[0,0,1] op_sel_hi:[0,1,0] neg_lo:[0,0,1] neg_hi:[0,0,1]
	v_mov_b32_e32 v23, v3
	v_pk_add_f32 v[2:3], v[0:1], v[22:23]
	v_pk_add_f32 v[16:17], v[22:23], v[20:21] neg_lo:[0,1] neg_hi:[0,1]
	v_pk_add_f32 v[2:3], v[2:3], v[44:45]
	v_pk_add_f32 v[4:5], v[22:23], v[20:21]
	;; [unrolled: 1-line block ×3, first 2 shown]
	s_mov_b32 s20, 0xbf27a4f4
	v_pk_add_f32 v[2:3], v[2:3], v[18:19]
	s_mov_b32 s26, 0xbe903f40
	v_pk_add_f32 v[2:3], v[2:3], v[6:7]
	;; [unrolled: 2-line block ×5, first 2 shown]
	s_nop 0
	v_pk_add_f32 v[2:3], v[2:3], v[14:15]
	v_pk_add_f32 v[14:15], v[44:45], v[14:15] neg_lo:[0,1] neg_hi:[0,1]
	v_pk_add_f32 v[2:3], v[2:3], v[20:21]
	v_pk_mul_f32 v[20:21], v[16:17], s[18:19] op_sel_hi:[1,0]
	v_pk_mul_f32 v[28:29], v[14:15], s[28:29] op_sel_hi:[1,0]
	v_pk_fma_f32 v[22:23], v[4:5], s[0:1], v[20:21] op_sel:[0,0,1] op_sel_hi:[1,0,0]
	v_pk_fma_f32 v[20:21], v[4:5], s[0:1], v[20:21] op_sel:[0,0,1] op_sel_hi:[1,0,0] neg_lo:[0,0,1] neg_hi:[0,0,1]
	v_mov_b32_e32 v24, v22
	v_mov_b32_e32 v25, v21
	v_pk_fma_f32 v[30:31], v[26:27], s[2:3], v[28:29] op_sel:[0,0,1] op_sel_hi:[1,0,0]
	v_pk_fma_f32 v[28:29], v[26:27], s[2:3], v[28:29] op_sel:[0,0,1] op_sel_hi:[1,0,0] neg_lo:[0,0,1] neg_hi:[0,0,1]
	v_pk_add_f32 v[24:25], v[0:1], v[24:25]
	v_mov_b32_e32 v32, v30
	v_mov_b32_e32 v33, v29
	v_pk_add_f32 v[24:25], v[32:33], v[24:25]
	v_pk_add_f32 v[32:33], v[40:41], v[12:13]
	v_pk_add_f32 v[12:13], v[40:41], v[12:13] neg_lo:[0,1] neg_hi:[0,1]
	ds_write_b64 v230, v[2:3]
	v_pk_mul_f32 v[34:35], v[12:13], s[16:17] op_sel_hi:[1,0]
	v_pk_mul_f32 v[2:3], v[16:17], s[28:29] op_sel_hi:[1,0]
	v_pk_fma_f32 v[36:37], v[32:33], s[6:7], v[34:35] op_sel:[0,0,1] op_sel_hi:[1,0,0]
	v_pk_fma_f32 v[34:35], v[32:33], s[6:7], v[34:35] op_sel:[0,0,1] op_sel_hi:[1,0,0] neg_lo:[0,0,1] neg_hi:[0,0,1]
	v_mov_b32_e32 v38, v36
	v_mov_b32_e32 v39, v35
	v_pk_add_f32 v[24:25], v[38:39], v[24:25]
	v_pk_add_f32 v[38:39], v[18:19], v[10:11]
	v_pk_add_f32 v[10:11], v[18:19], v[10:11] neg_lo:[0,1] neg_hi:[0,1]
	v_pk_fma_f32 v[48:49], v[4:5], s[2:3], v[2:3] op_sel:[0,0,1] op_sel_hi:[1,0,0] neg_lo:[0,0,1] neg_hi:[0,0,1]
	v_pk_mul_f32 v[18:19], v[10:11], s[22:23] op_sel_hi:[1,0]
	v_pk_mul_f32 v[50:51], v[14:15], s[22:23] op_sel_hi:[1,0]
	v_pk_fma_f32 v[40:41], v[38:39], s[20:21], v[18:19] op_sel:[0,0,1] op_sel_hi:[1,0,0]
	v_pk_fma_f32 v[18:19], v[38:39], s[20:21], v[18:19] op_sel:[0,0,1] op_sel_hi:[1,0,0] neg_lo:[0,0,1] neg_hi:[0,0,1]
	v_mov_b32_e32 v42, v40
	v_mov_b32_e32 v43, v19
	v_pk_add_f32 v[24:25], v[42:43], v[24:25]
	v_pk_add_f32 v[42:43], v[6:7], v[8:9]
	v_pk_add_f32 v[6:7], v[6:7], v[8:9] neg_lo:[0,1] neg_hi:[0,1]
	v_pk_fma_f32 v[52:53], v[26:27], s[20:21], v[50:51] op_sel:[0,0,1] op_sel_hi:[1,0,0]
	v_pk_mul_f32 v[8:9], v[6:7], s[26:27] op_sel_hi:[1,0]
	v_pk_fma_f32 v[50:51], v[26:27], s[20:21], v[50:51] op_sel:[0,0,1] op_sel_hi:[1,0,0] neg_lo:[0,0,1] neg_hi:[0,0,1]
	v_pk_fma_f32 v[44:45], v[42:43], s[24:25], v[8:9] op_sel:[0,0,1] op_sel_hi:[1,0,0]
	v_pk_fma_f32 v[8:9], v[42:43], s[24:25], v[8:9] op_sel:[0,0,1] op_sel_hi:[1,0,0] neg_lo:[0,0,1] neg_hi:[0,0,1]
	v_mov_b32_e32 v46, v44
	v_mov_b32_e32 v47, v9
	v_pk_add_f32 v[24:25], v[46:47], v[24:25]
	v_pk_fma_f32 v[46:47], v[4:5], s[2:3], v[2:3] op_sel:[0,0,1] op_sel_hi:[1,0,0]
	v_mov_b32_e32 v3, v49
	v_mov_b32_e32 v2, v46
	v_pk_add_f32 v[2:3], v[0:1], v[2:3]
	v_mov_b32_e32 v54, v52
	v_mov_b32_e32 v55, v51
	s_mov_b32 s28, 0x3e903f40
	v_pk_add_f32 v[2:3], v[54:55], v[2:3]
	v_pk_mul_f32 v[54:55], v[12:13], s[28:29] op_sel_hi:[1,0]
	v_pk_mul_f32 v[72:73], v[14:15], s[28:29] op_sel_hi:[1,0]
	v_pk_fma_f32 v[56:57], v[32:33], s[24:25], v[54:55] op_sel:[0,0,1] op_sel_hi:[1,0,0]
	v_pk_fma_f32 v[54:55], v[32:33], s[24:25], v[54:55] op_sel:[0,0,1] op_sel_hi:[1,0,0] neg_lo:[0,0,1] neg_hi:[0,0,1]
	v_mov_b32_e32 v58, v56
	v_mov_b32_e32 v59, v55
	v_pk_add_f32 v[2:3], v[58:59], v[2:3]
	v_pk_mul_f32 v[58:59], v[10:11], s[30:31] op_sel_hi:[1,0]
	v_pk_fma_f32 v[74:75], v[26:27], s[24:25], v[72:73] op_sel:[0,0,1] op_sel_hi:[1,0,0]
	v_pk_fma_f32 v[60:61], v[38:39], s[6:7], v[58:59] op_sel:[0,0,1] op_sel_hi:[1,0,0]
	v_pk_fma_f32 v[58:59], v[38:39], s[6:7], v[58:59] op_sel:[0,0,1] op_sel_hi:[1,0,0] neg_lo:[0,0,1] neg_hi:[0,0,1]
	v_mov_b32_e32 v62, v60
	v_mov_b32_e32 v63, v59
	v_pk_add_f32 v[2:3], v[62:63], v[2:3]
	v_pk_mul_f32 v[62:63], v[6:7], s[34:35] op_sel_hi:[1,0]
	v_pk_fma_f32 v[72:73], v[26:27], s[24:25], v[72:73] op_sel:[0,0,1] op_sel_hi:[1,0,0] neg_lo:[0,0,1] neg_hi:[0,0,1]
	v_pk_fma_f32 v[64:65], v[42:43], s[0:1], v[62:63] op_sel:[0,0,1] op_sel_hi:[1,0,0]
	v_pk_fma_f32 v[62:63], v[42:43], s[0:1], v[62:63] op_sel:[0,0,1] op_sel_hi:[1,0,0] neg_lo:[0,0,1] neg_hi:[0,0,1]
	v_mov_b32_e32 v70, v64
	v_mov_b32_e32 v71, v63
	v_pk_add_f32 v[2:3], v[70:71], v[2:3]
	ds_write2_b64 v230, v[24:25], v[2:3] offset0:51 offset1:102
	v_pk_mul_f32 v[2:3], v[16:17], s[16:17] op_sel_hi:[1,0]
	v_mov_b32_e32 v76, v74
	v_pk_fma_f32 v[24:25], v[4:5], s[6:7], v[2:3] op_sel:[0,0,1] op_sel_hi:[1,0,0]
	v_pk_fma_f32 v[70:71], v[4:5], s[6:7], v[2:3] op_sel:[0,0,1] op_sel_hi:[1,0,0] neg_lo:[0,0,1] neg_hi:[0,0,1]
	v_mov_b32_e32 v2, v24
	v_mov_b32_e32 v3, v71
	v_pk_add_f32 v[2:3], v[0:1], v[2:3]
	v_mov_b32_e32 v77, v73
	s_mov_b32 s28, 0x3f68dda4
	v_pk_add_f32 v[2:3], v[76:77], v[2:3]
	v_pk_mul_f32 v[76:77], v[12:13], s[28:29] op_sel_hi:[1,0]
	v_pk_mul_f32 v[94:95], v[14:15], s[30:31] op_sel_hi:[1,0]
	v_pk_fma_f32 v[78:79], v[32:33], s[2:3], v[76:77] op_sel:[0,0,1] op_sel_hi:[1,0,0]
	v_pk_fma_f32 v[76:77], v[32:33], s[2:3], v[76:77] op_sel:[0,0,1] op_sel_hi:[1,0,0] neg_lo:[0,0,1] neg_hi:[0,0,1]
	v_mov_b32_e32 v80, v78
	v_mov_b32_e32 v81, v77
	v_pk_add_f32 v[2:3], v[80:81], v[2:3]
	v_pk_mul_f32 v[80:81], v[10:11], s[18:19] op_sel_hi:[1,0]
	v_pk_fma_f32 v[96:97], v[26:27], s[6:7], v[94:95] op_sel:[0,0,1] op_sel_hi:[1,0,0]
	v_pk_fma_f32 v[82:83], v[38:39], s[0:1], v[80:81] op_sel:[0,0,1] op_sel_hi:[1,0,0]
	v_pk_fma_f32 v[80:81], v[38:39], s[0:1], v[80:81] op_sel:[0,0,1] op_sel_hi:[1,0,0] neg_lo:[0,0,1] neg_hi:[0,0,1]
	v_mov_b32_e32 v84, v82
	v_mov_b32_e32 v85, v81
	v_pk_add_f32 v[2:3], v[84:85], v[2:3]
	v_pk_mul_f32 v[84:85], v[6:7], s[22:23] op_sel_hi:[1,0]
	v_pk_fma_f32 v[94:95], v[26:27], s[6:7], v[94:95] op_sel:[0,0,1] op_sel_hi:[1,0,0] neg_lo:[0,0,1] neg_hi:[0,0,1]
	v_pk_fma_f32 v[86:87], v[42:43], s[20:21], v[84:85] op_sel:[0,0,1] op_sel_hi:[1,0,0]
	v_pk_fma_f32 v[84:85], v[42:43], s[20:21], v[84:85] op_sel:[0,0,1] op_sel_hi:[1,0,0] neg_lo:[0,0,1] neg_hi:[0,0,1]
	v_mov_b32_e32 v88, v86
	v_mov_b32_e32 v89, v85
	v_pk_add_f32 v[2:3], v[88:89], v[2:3]
	v_pk_mul_f32 v[88:89], v[16:17], s[22:23] op_sel_hi:[1,0]
	v_mov_b32_e32 v98, v96
	v_pk_fma_f32 v[90:91], v[4:5], s[20:21], v[88:89] op_sel:[0,0,1] op_sel_hi:[1,0,0]
	v_pk_fma_f32 v[88:89], v[4:5], s[20:21], v[88:89] op_sel:[0,0,1] op_sel_hi:[1,0,0] neg_lo:[0,0,1] neg_hi:[0,0,1]
	v_mov_b32_e32 v92, v90
	v_mov_b32_e32 v93, v89
	v_pk_add_f32 v[92:93], v[0:1], v[92:93]
	v_mov_b32_e32 v99, v95
	v_pk_add_f32 v[92:93], v[98:99], v[92:93]
	v_pk_mul_f32 v[98:99], v[12:13], s[18:19] op_sel_hi:[1,0]
	v_pk_mul_f32 v[14:15], v[14:15], s[34:35] op_sel_hi:[1,0]
	v_pk_fma_f32 v[100:101], v[32:33], s[0:1], v[98:99] op_sel:[0,0,1] op_sel_hi:[1,0,0]
	v_pk_fma_f32 v[98:99], v[32:33], s[0:1], v[98:99] op_sel:[0,0,1] op_sel_hi:[1,0,0] neg_lo:[0,0,1] neg_hi:[0,0,1]
	v_mov_b32_e32 v102, v100
	v_mov_b32_e32 v103, v99
	v_pk_add_f32 v[92:93], v[102:103], v[92:93]
	v_pk_mul_f32 v[102:103], v[10:11], s[26:27] op_sel_hi:[1,0]
	v_pk_mul_f32 v[12:13], v[12:13], s[22:23] op_sel_hi:[1,0]
	v_pk_fma_f32 v[104:105], v[38:39], s[24:25], v[102:103] op_sel:[0,0,1] op_sel_hi:[1,0,0]
	v_pk_fma_f32 v[102:103], v[38:39], s[24:25], v[102:103] op_sel:[0,0,1] op_sel_hi:[1,0,0] neg_lo:[0,0,1] neg_hi:[0,0,1]
	v_mov_b32_e32 v106, v104
	;; [unrolled: 7-line block ×3, first 2 shown]
	v_mov_b32_e32 v111, v107
	v_pk_add_f32 v[92:93], v[110:111], v[92:93]
	ds_write2_b64 v230, v[2:3], v[92:93] offset0:153 offset1:204
	v_pk_mul_f32 v[2:3], v[16:17], s[26:27] op_sel_hi:[1,0]
	v_pk_fma_f32 v[92:93], v[26:27], s[0:1], v[14:15] op_sel:[0,0,1] op_sel_hi:[1,0,0]
	v_pk_fma_f32 v[16:17], v[4:5], s[24:25], v[2:3] op_sel:[0,0,1] op_sel_hi:[1,0,0]
	v_pk_fma_f32 v[2:3], v[4:5], s[24:25], v[2:3] op_sel:[0,0,1] op_sel_hi:[1,0,0] neg_lo:[0,0,1] neg_hi:[0,0,1]
	v_mov_b32_e32 v4, v16
	v_mov_b32_e32 v5, v3
	v_pk_fma_f32 v[14:15], v[26:27], s[0:1], v[14:15] op_sel:[0,0,1] op_sel_hi:[1,0,0] neg_lo:[0,0,1] neg_hi:[0,0,1]
	v_pk_add_f32 v[4:5], v[0:1], v[4:5]
	v_mov_b32_e32 v26, v92
	v_mov_b32_e32 v27, v15
	v_pk_add_f32 v[4:5], v[26:27], v[4:5]
	v_pk_fma_f32 v[26:27], v[32:33], s[20:21], v[12:13] op_sel:[0,0,1] op_sel_hi:[1,0,0]
	v_pk_fma_f32 v[12:13], v[32:33], s[20:21], v[12:13] op_sel:[0,0,1] op_sel_hi:[1,0,0] neg_lo:[0,0,1] neg_hi:[0,0,1]
	v_mov_b32_e32 v32, v26
	v_mov_b32_e32 v33, v13
	;; [unrolled: 1-line block ×3, first 2 shown]
	v_pk_add_f32 v[4:5], v[32:33], v[4:5]
	v_pk_fma_f32 v[32:33], v[38:39], s[2:3], v[10:11] op_sel:[0,0,1] op_sel_hi:[1,0,0]
	v_pk_fma_f32 v[10:11], v[38:39], s[2:3], v[10:11] op_sel:[0,0,1] op_sel_hi:[1,0,0] neg_lo:[0,0,1] neg_hi:[0,0,1]
	v_pk_add_f32 v[2:3], v[0:1], v[2:3]
	v_mov_b32_e32 v15, v93
	v_mov_b32_e32 v38, v32
	;; [unrolled: 1-line block ×3, first 2 shown]
	v_pk_mul_f32 v[6:7], v[6:7], s[16:17] op_sel_hi:[1,0]
	v_pk_add_f32 v[2:3], v[14:15], v[2:3]
	v_mov_b32_e32 v13, v27
	v_pk_add_f32 v[4:5], v[38:39], v[4:5]
	v_pk_fma_f32 v[38:39], v[42:43], s[6:7], v[6:7] op_sel:[0,0,1] op_sel_hi:[1,0,0]
	v_pk_fma_f32 v[6:7], v[42:43], s[6:7], v[6:7] op_sel:[0,0,1] op_sel_hi:[1,0,0] neg_lo:[0,0,1] neg_hi:[0,0,1]
	v_pk_add_f32 v[2:3], v[12:13], v[2:3]
	v_mov_b32_e32 v11, v33
	v_mov_b32_e32 v42, v38
	;; [unrolled: 1-line block ×3, first 2 shown]
	v_pk_add_f32 v[2:3], v[10:11], v[2:3]
	v_mov_b32_e32 v7, v39
	v_pk_add_f32 v[4:5], v[42:43], v[4:5]
	v_pk_add_f32 v[6:7], v[6:7], v[2:3]
	v_add_u32_e32 v3, 0x400, v230
	v_mov_b32_e32 v89, v91
	v_mov_b32_e32 v71, v25
	ds_write2_b64 v3, v[4:5], v[6:7] offset0:127 offset1:178
	v_pk_add_f32 v[4:5], v[0:1], v[88:89]
	v_mov_b32_e32 v95, v97
	v_pk_add_f32 v[6:7], v[0:1], v[70:71]
	v_mov_b32_e32 v73, v75
	;; [unrolled: 2-line block ×8, first 2 shown]
	v_pk_add_f32 v[4:5], v[106:107], v[4:5]
	v_pk_add_f32 v[6:7], v[84:85], v[6:7]
	v_add_u32_e32 v2, 0x800, v230
	v_mov_b32_e32 v49, v47
	v_mov_b32_e32 v21, v23
	ds_write2_b64 v2, v[4:5], v[6:7] offset0:101 offset1:152
	v_pk_add_f32 v[4:5], v[0:1], v[48:49]
	v_mov_b32_e32 v51, v53
	v_pk_add_f32 v[0:1], v[0:1], v[20:21]
	v_mov_b32_e32 v29, v31
	;; [unrolled: 2-line block ×8, first 2 shown]
	v_pk_add_f32 v[4:5], v[62:63], v[4:5]
	v_pk_add_f32 v[0:1], v[8:9], v[0:1]
	ds_write2_b64 v2, v[4:5], v[0:1] offset0:203 offset1:254
	s_waitcnt lgkmcnt(0)
	s_barrier
	s_and_b64 exec, exec, s[4:5]
	s_cbranch_execz .LBB0_23
; %bb.22:
	global_load_dwordx2 v[0:1], v66, s[12:13]
	v_mad_u64_u32 v[6:7], s[0:1], s10, v68, 0
	ds_read_b64 v[8:9], v230
	v_mad_u64_u32 v[10:11], s[2:3], s8, v212, 0
	v_mov_b32_e32 v12, v7
	v_mov_b32_e32 v14, v11
	v_mad_u64_u32 v[12:13], s[2:3], s11, v68, v[12:13]
	v_mov_b32_e32 v4, s14
	v_mov_b32_e32 v5, s15
	;; [unrolled: 3-line block ×3, first 2 shown]
	v_lshl_add_u64 v[4:5], v[6:7], 3, v[4:5]
	v_lshl_add_u64 v[10:11], v[10:11], 3, v[4:5]
	s_mov_b32 s0, 0x4bc01d34
	s_mov_b32 s1, 0x3f5d347a
	v_mov_b32_e32 v12, 0x108
	s_mul_i32 s2, s9, 0x108
	v_mov_b32_e32 v67, 0
	s_movk_i32 s3, 0x1000
	s_waitcnt vmcnt(0) lgkmcnt(0)
	v_mul_f32_e32 v4, v9, v1
	v_mul_f32_e32 v1, v8, v1
	v_fmac_f32_e32 v4, v8, v0
	v_fma_f32 v5, v0, v9, -v1
	v_cvt_f64_f32_e32 v[0:1], v4
	v_cvt_f64_f32_e32 v[4:5], v5
	v_mul_f64 v[0:1], v[0:1], s[0:1]
	v_mul_f64 v[4:5], v[4:5], s[0:1]
	v_cvt_f32_f64_e32 v0, v[0:1]
	v_cvt_f32_f64_e32 v1, v[4:5]
	global_store_dwordx2 v[10:11], v[0:1], off
	global_load_dwordx2 v[0:1], v66, s[12:13] offset:264
	ds_read2_b64 v[4:7], v230 offset0:33 offset1:66
	v_mad_u64_u32 v[8:9], s[4:5], s8, v12, v[10:11]
	v_add_u32_e32 v9, s2, v9
	s_waitcnt vmcnt(0) lgkmcnt(0)
	v_mul_f32_e32 v10, v5, v1
	v_mul_f32_e32 v1, v4, v1
	v_fmac_f32_e32 v10, v4, v0
	v_fma_f32 v4, v0, v5, -v1
	v_cvt_f64_f32_e32 v[0:1], v10
	v_cvt_f64_f32_e32 v[4:5], v4
	v_mul_f64 v[0:1], v[0:1], s[0:1]
	v_mul_f64 v[4:5], v[4:5], s[0:1]
	v_cvt_f32_f64_e32 v0, v[0:1]
	v_cvt_f32_f64_e32 v1, v[4:5]
	global_store_dwordx2 v[8:9], v[0:1], off
	global_load_dwordx2 v[0:1], v66, s[12:13] offset:528
	v_mad_u64_u32 v[8:9], s[4:5], s8, v12, v[8:9]
	v_add_u32_e32 v9, s2, v9
	s_waitcnt vmcnt(0)
	v_mul_f32_e32 v4, v7, v1
	v_mul_f32_e32 v1, v6, v1
	v_fmac_f32_e32 v4, v6, v0
	v_fma_f32 v5, v0, v7, -v1
	v_cvt_f64_f32_e32 v[0:1], v4
	v_cvt_f64_f32_e32 v[4:5], v5
	v_mul_f64 v[0:1], v[0:1], s[0:1]
	v_mul_f64 v[4:5], v[4:5], s[0:1]
	v_cvt_f32_f64_e32 v0, v[0:1]
	v_cvt_f32_f64_e32 v1, v[4:5]
	global_store_dwordx2 v[8:9], v[0:1], off
	global_load_dwordx2 v[0:1], v66, s[12:13] offset:792
	ds_read2_b64 v[4:7], v230 offset0:99 offset1:132
	v_mad_u64_u32 v[8:9], s[4:5], s8, v12, v[8:9]
	v_add_u32_e32 v9, s2, v9
	s_waitcnt vmcnt(0) lgkmcnt(0)
	v_mul_f32_e32 v10, v5, v1
	v_mul_f32_e32 v1, v4, v1
	v_fmac_f32_e32 v10, v4, v0
	v_fma_f32 v4, v0, v5, -v1
	v_cvt_f64_f32_e32 v[0:1], v10
	v_cvt_f64_f32_e32 v[4:5], v4
	v_mul_f64 v[0:1], v[0:1], s[0:1]
	v_mul_f64 v[4:5], v[4:5], s[0:1]
	v_cvt_f32_f64_e32 v0, v[0:1]
	v_cvt_f32_f64_e32 v1, v[4:5]
	global_store_dwordx2 v[8:9], v[0:1], off
	global_load_dwordx2 v[0:1], v66, s[12:13] offset:1056
	v_mad_u64_u32 v[8:9], s[4:5], s8, v12, v[8:9]
	v_add_u32_e32 v9, s2, v9
	s_waitcnt vmcnt(0)
	;; [unrolled: 31-line block ×6, first 2 shown]
	v_mul_f32_e32 v3, v7, v1
	v_mul_f32_e32 v1, v6, v1
	v_fmac_f32_e32 v3, v6, v0
	v_fma_f32 v6, v0, v7, -v1
	v_cvt_f64_f32_e32 v[0:1], v3
	v_cvt_f64_f32_e32 v[6:7], v6
	v_mul_f64 v[0:1], v[0:1], s[0:1]
	v_mul_f64 v[6:7], v[6:7], s[0:1]
	v_cvt_f32_f64_e32 v0, v[0:1]
	v_cvt_f32_f64_e32 v1, v[6:7]
	global_store_dwordx2 v[4:5], v[0:1], off
	global_load_dwordx2 v[6:7], v66, s[12:13] offset:3432
	ds_read2_b64 v[0:3], v2 offset0:173 offset1:206
	v_mad_u64_u32 v[4:5], s[4:5], s8, v12, v[4:5]
	v_add_u32_e32 v5, s2, v5
	s_waitcnt vmcnt(0) lgkmcnt(0)
	v_mul_f32_e32 v8, v1, v7
	v_mul_f32_e32 v7, v0, v7
	v_fmac_f32_e32 v8, v0, v6
	v_fma_f32 v6, v6, v1, -v7
	v_cvt_f64_f32_e32 v[0:1], v8
	v_cvt_f64_f32_e32 v[6:7], v6
	v_mul_f64 v[0:1], v[0:1], s[0:1]
	v_mul_f64 v[6:7], v[6:7], s[0:1]
	v_cvt_f32_f64_e32 v0, v[0:1]
	v_cvt_f32_f64_e32 v1, v[6:7]
	global_store_dwordx2 v[4:5], v[0:1], off
	global_load_dwordx2 v[0:1], v66, s[12:13] offset:3696
	v_mad_u64_u32 v[4:5], s[4:5], s8, v12, v[4:5]
	v_add_u32_e32 v5, s2, v5
	v_lshl_add_u64 v[8:9], s[12:13], 0, v[66:67]
	v_add_co_u32_e32 v8, vcc, s3, v8
	s_waitcnt vmcnt(0)
	v_mul_f32_e32 v6, v3, v1
	v_mul_f32_e32 v1, v2, v1
	v_fmac_f32_e32 v6, v2, v0
	v_fma_f32 v2, v0, v3, -v1
	v_cvt_f64_f32_e32 v[0:1], v6
	v_cvt_f64_f32_e32 v[2:3], v2
	v_mul_f64 v[0:1], v[0:1], s[0:1]
	v_mul_f64 v[2:3], v[2:3], s[0:1]
	v_cvt_f32_f64_e32 v0, v[0:1]
	v_cvt_f32_f64_e32 v1, v[2:3]
	global_store_dwordx2 v[4:5], v[0:1], off
	global_load_dwordx2 v[6:7], v66, s[12:13] offset:3960
	v_add_u32_e32 v0, 0xc00, v230
	ds_read2_b64 v[0:3], v0 offset0:111 offset1:144
	v_mad_u64_u32 v[4:5], s[4:5], s8, v12, v[4:5]
	v_add_u32_e32 v5, s2, v5
	v_addc_co_u32_e32 v9, vcc, 0, v9, vcc
	s_waitcnt vmcnt(0) lgkmcnt(0)
	v_mul_f32_e32 v10, v1, v7
	v_mul_f32_e32 v7, v0, v7
	v_fmac_f32_e32 v10, v0, v6
	v_fma_f32 v6, v6, v1, -v7
	v_cvt_f64_f32_e32 v[0:1], v10
	v_cvt_f64_f32_e32 v[6:7], v6
	v_mul_f64 v[0:1], v[0:1], s[0:1]
	v_mul_f64 v[6:7], v[6:7], s[0:1]
	v_cvt_f32_f64_e32 v0, v[0:1]
	v_cvt_f32_f64_e32 v1, v[6:7]
	global_store_dwordx2 v[4:5], v[0:1], off
	global_load_dwordx2 v[0:1], v[8:9], off offset:128
	v_mad_u64_u32 v[4:5], s[4:5], s8, v12, v[4:5]
	v_add_u32_e32 v5, s2, v5
	s_waitcnt vmcnt(0)
	v_mul_f32_e32 v6, v3, v1
	v_mul_f32_e32 v1, v2, v1
	v_fmac_f32_e32 v6, v2, v0
	v_fma_f32 v2, v0, v3, -v1
	v_cvt_f64_f32_e32 v[0:1], v6
	v_cvt_f64_f32_e32 v[2:3], v2
	v_mul_f64 v[0:1], v[0:1], s[0:1]
	v_mul_f64 v[2:3], v[2:3], s[0:1]
	v_cvt_f32_f64_e32 v0, v[0:1]
	v_cvt_f32_f64_e32 v1, v[2:3]
	global_store_dwordx2 v[4:5], v[0:1], off
.LBB0_23:
	s_endpgm
	.section	.rodata,"a",@progbits
	.p2align	6, 0x0
	.amdhsa_kernel bluestein_single_back_len561_dim1_sp_op_CI_CI
		.amdhsa_group_segment_fixed_size 22440
		.amdhsa_private_segment_fixed_size 0
		.amdhsa_kernarg_size 104
		.amdhsa_user_sgpr_count 2
		.amdhsa_user_sgpr_dispatch_ptr 0
		.amdhsa_user_sgpr_queue_ptr 0
		.amdhsa_user_sgpr_kernarg_segment_ptr 1
		.amdhsa_user_sgpr_dispatch_id 0
		.amdhsa_user_sgpr_kernarg_preload_length 0
		.amdhsa_user_sgpr_kernarg_preload_offset 0
		.amdhsa_user_sgpr_private_segment_size 0
		.amdhsa_uses_dynamic_stack 0
		.amdhsa_enable_private_segment 0
		.amdhsa_system_sgpr_workgroup_id_x 1
		.amdhsa_system_sgpr_workgroup_id_y 0
		.amdhsa_system_sgpr_workgroup_id_z 0
		.amdhsa_system_sgpr_workgroup_info 0
		.amdhsa_system_vgpr_workitem_id 0
		.amdhsa_next_free_vgpr 330
		.amdhsa_next_free_sgpr 76
		.amdhsa_accum_offset 256
		.amdhsa_reserve_vcc 1
		.amdhsa_float_round_mode_32 0
		.amdhsa_float_round_mode_16_64 0
		.amdhsa_float_denorm_mode_32 3
		.amdhsa_float_denorm_mode_16_64 3
		.amdhsa_dx10_clamp 1
		.amdhsa_ieee_mode 1
		.amdhsa_fp16_overflow 0
		.amdhsa_tg_split 0
		.amdhsa_exception_fp_ieee_invalid_op 0
		.amdhsa_exception_fp_denorm_src 0
		.amdhsa_exception_fp_ieee_div_zero 0
		.amdhsa_exception_fp_ieee_overflow 0
		.amdhsa_exception_fp_ieee_underflow 0
		.amdhsa_exception_fp_ieee_inexact 0
		.amdhsa_exception_int_div_zero 0
	.end_amdhsa_kernel
	.text
.Lfunc_end0:
	.size	bluestein_single_back_len561_dim1_sp_op_CI_CI, .Lfunc_end0-bluestein_single_back_len561_dim1_sp_op_CI_CI
                                        ; -- End function
	.section	.AMDGPU.csdata,"",@progbits
; Kernel info:
; codeLenInByte = 20208
; NumSgprs: 82
; NumVgprs: 256
; NumAgprs: 74
; TotalNumVgprs: 330
; ScratchSize: 0
; MemoryBound: 0
; FloatMode: 240
; IeeeMode: 1
; LDSByteSize: 22440 bytes/workgroup (compile time only)
; SGPRBlocks: 10
; VGPRBlocks: 41
; NumSGPRsForWavesPerEU: 82
; NumVGPRsForWavesPerEU: 330
; AccumOffset: 256
; Occupancy: 1
; WaveLimiterHint : 1
; COMPUTE_PGM_RSRC2:SCRATCH_EN: 0
; COMPUTE_PGM_RSRC2:USER_SGPR: 2
; COMPUTE_PGM_RSRC2:TRAP_HANDLER: 0
; COMPUTE_PGM_RSRC2:TGID_X_EN: 1
; COMPUTE_PGM_RSRC2:TGID_Y_EN: 0
; COMPUTE_PGM_RSRC2:TGID_Z_EN: 0
; COMPUTE_PGM_RSRC2:TIDIG_COMP_CNT: 0
; COMPUTE_PGM_RSRC3_GFX90A:ACCUM_OFFSET: 63
; COMPUTE_PGM_RSRC3_GFX90A:TG_SPLIT: 0
	.text
	.p2alignl 6, 3212836864
	.fill 256, 4, 3212836864
	.type	__hip_cuid_82ed7e3b0dc4babc,@object ; @__hip_cuid_82ed7e3b0dc4babc
	.section	.bss,"aw",@nobits
	.globl	__hip_cuid_82ed7e3b0dc4babc
__hip_cuid_82ed7e3b0dc4babc:
	.byte	0                               ; 0x0
	.size	__hip_cuid_82ed7e3b0dc4babc, 1

	.ident	"AMD clang version 19.0.0git (https://github.com/RadeonOpenCompute/llvm-project roc-6.4.0 25133 c7fe45cf4b819c5991fe208aaa96edf142730f1d)"
	.section	".note.GNU-stack","",@progbits
	.addrsig
	.addrsig_sym __hip_cuid_82ed7e3b0dc4babc
	.amdgpu_metadata
---
amdhsa.kernels:
  - .agpr_count:     74
    .args:
      - .actual_access:  read_only
        .address_space:  global
        .offset:         0
        .size:           8
        .value_kind:     global_buffer
      - .actual_access:  read_only
        .address_space:  global
        .offset:         8
        .size:           8
        .value_kind:     global_buffer
      - .actual_access:  read_only
        .address_space:  global
        .offset:         16
        .size:           8
        .value_kind:     global_buffer
      - .actual_access:  read_only
        .address_space:  global
        .offset:         24
        .size:           8
        .value_kind:     global_buffer
      - .actual_access:  read_only
        .address_space:  global
        .offset:         32
        .size:           8
        .value_kind:     global_buffer
      - .offset:         40
        .size:           8
        .value_kind:     by_value
      - .address_space:  global
        .offset:         48
        .size:           8
        .value_kind:     global_buffer
      - .address_space:  global
        .offset:         56
        .size:           8
        .value_kind:     global_buffer
      - .address_space:  global
        .offset:         64
        .size:           8
        .value_kind:     global_buffer
      - .address_space:  global
        .offset:         72
        .size:           8
        .value_kind:     global_buffer
      - .offset:         80
        .size:           4
        .value_kind:     by_value
      - .address_space:  global
        .offset:         88
        .size:           8
        .value_kind:     global_buffer
      - .address_space:  global
        .offset:         96
        .size:           8
        .value_kind:     global_buffer
    .group_segment_fixed_size: 22440
    .kernarg_segment_align: 8
    .kernarg_segment_size: 104
    .language:       OpenCL C
    .language_version:
      - 2
      - 0
    .max_flat_workgroup_size: 255
    .name:           bluestein_single_back_len561_dim1_sp_op_CI_CI
    .private_segment_fixed_size: 0
    .sgpr_count:     82
    .sgpr_spill_count: 0
    .symbol:         bluestein_single_back_len561_dim1_sp_op_CI_CI.kd
    .uniform_work_group_size: 1
    .uses_dynamic_stack: false
    .vgpr_count:     330
    .vgpr_spill_count: 0
    .wavefront_size: 64
amdhsa.target:   amdgcn-amd-amdhsa--gfx950
amdhsa.version:
  - 1
  - 2
...

	.end_amdgpu_metadata
